;; amdgpu-corpus repo=ROCm/rocFFT kind=compiled arch=gfx1201 opt=O3
	.text
	.amdgcn_target "amdgcn-amd-amdhsa--gfx1201"
	.amdhsa_code_object_version 6
	.protected	fft_rtc_back_len338_factors_13_2_13_wgs_52_tpt_26_halfLds_half_op_CI_CI_unitstride_sbrr_C2R_dirReg ; -- Begin function fft_rtc_back_len338_factors_13_2_13_wgs_52_tpt_26_halfLds_half_op_CI_CI_unitstride_sbrr_C2R_dirReg
	.globl	fft_rtc_back_len338_factors_13_2_13_wgs_52_tpt_26_halfLds_half_op_CI_CI_unitstride_sbrr_C2R_dirReg
	.p2align	8
	.type	fft_rtc_back_len338_factors_13_2_13_wgs_52_tpt_26_halfLds_half_op_CI_CI_unitstride_sbrr_C2R_dirReg,@function
fft_rtc_back_len338_factors_13_2_13_wgs_52_tpt_26_halfLds_half_op_CI_CI_unitstride_sbrr_C2R_dirReg: ; @fft_rtc_back_len338_factors_13_2_13_wgs_52_tpt_26_halfLds_half_op_CI_CI_unitstride_sbrr_C2R_dirReg
; %bb.0:
	s_clause 0x2
	s_load_b128 s[8:11], s[0:1], 0x0
	s_load_b128 s[4:7], s[0:1], 0x58
	;; [unrolled: 1-line block ×3, first 2 shown]
	v_mul_u32_u24_e32 v1, 0x9d9, v0
	v_mov_b32_e32 v3, 0
	v_mov_b32_e32 v7, 0
	;; [unrolled: 1-line block ×3, first 2 shown]
	s_delay_alu instid0(VALU_DEP_4) | instskip(NEXT) | instid1(VALU_DEP_4)
	v_lshrrev_b32_e32 v11, 16, v1
	v_mov_b32_e32 v10, v3
	s_delay_alu instid0(VALU_DEP_2) | instskip(SKIP_2) | instid1(VALU_DEP_1)
	v_lshl_add_u32 v9, ttmp9, 1, v11
	s_wait_kmcnt 0x0
	v_cmp_lt_u64_e64 s2, s[10:11], 2
	s_and_b32 vcc_lo, exec_lo, s2
	s_cbranch_vccnz .LBB0_8
; %bb.1:
	s_load_b64 s[2:3], s[0:1], 0x10
	v_mov_b32_e32 v7, 0
	v_mov_b32_e32 v8, 0
	s_delay_alu instid0(VALU_DEP_2)
	v_mov_b32_e32 v1, v7
	s_add_nc_u64 s[16:17], s[14:15], 8
	s_add_nc_u64 s[18:19], s[12:13], 8
	s_mov_b64 s[20:21], 1
	v_mov_b32_e32 v2, v8
	s_wait_kmcnt 0x0
	s_add_nc_u64 s[22:23], s[2:3], 8
	s_mov_b32 s3, 0
.LBB0_2:                                ; =>This Inner Loop Header: Depth=1
	s_load_b64 s[24:25], s[22:23], 0x0
                                        ; implicit-def: $vgpr5_vgpr6
	s_mov_b32 s2, exec_lo
	s_wait_kmcnt 0x0
	v_or_b32_e32 v4, s25, v10
	s_delay_alu instid0(VALU_DEP_1)
	v_cmpx_ne_u64_e32 0, v[3:4]
	s_wait_alu 0xfffe
	s_xor_b32 s26, exec_lo, s2
	s_cbranch_execz .LBB0_4
; %bb.3:                                ;   in Loop: Header=BB0_2 Depth=1
	s_cvt_f32_u32 s2, s24
	s_cvt_f32_u32 s27, s25
	s_sub_nc_u64 s[30:31], 0, s[24:25]
	s_wait_alu 0xfffe
	s_delay_alu instid0(SALU_CYCLE_1) | instskip(SKIP_1) | instid1(SALU_CYCLE_2)
	s_fmamk_f32 s2, s27, 0x4f800000, s2
	s_wait_alu 0xfffe
	v_s_rcp_f32 s2, s2
	s_delay_alu instid0(TRANS32_DEP_1) | instskip(SKIP_1) | instid1(SALU_CYCLE_2)
	s_mul_f32 s2, s2, 0x5f7ffffc
	s_wait_alu 0xfffe
	s_mul_f32 s27, s2, 0x2f800000
	s_wait_alu 0xfffe
	s_delay_alu instid0(SALU_CYCLE_2) | instskip(SKIP_1) | instid1(SALU_CYCLE_2)
	s_trunc_f32 s27, s27
	s_wait_alu 0xfffe
	s_fmamk_f32 s2, s27, 0xcf800000, s2
	s_cvt_u32_f32 s29, s27
	s_wait_alu 0xfffe
	s_delay_alu instid0(SALU_CYCLE_1) | instskip(SKIP_1) | instid1(SALU_CYCLE_2)
	s_cvt_u32_f32 s28, s2
	s_wait_alu 0xfffe
	s_mul_u64 s[34:35], s[30:31], s[28:29]
	s_wait_alu 0xfffe
	s_mul_hi_u32 s37, s28, s35
	s_mul_i32 s36, s28, s35
	s_mul_hi_u32 s2, s28, s34
	s_mul_i32 s33, s29, s34
	s_wait_alu 0xfffe
	s_add_nc_u64 s[36:37], s[2:3], s[36:37]
	s_mul_hi_u32 s27, s29, s34
	s_mul_hi_u32 s38, s29, s35
	s_add_co_u32 s2, s36, s33
	s_wait_alu 0xfffe
	s_add_co_ci_u32 s2, s37, s27
	s_mul_i32 s34, s29, s35
	s_add_co_ci_u32 s35, s38, 0
	s_wait_alu 0xfffe
	s_add_nc_u64 s[34:35], s[2:3], s[34:35]
	s_wait_alu 0xfffe
	v_add_co_u32 v4, s2, s28, s34
	s_delay_alu instid0(VALU_DEP_1) | instskip(SKIP_1) | instid1(VALU_DEP_1)
	s_cmp_lg_u32 s2, 0
	s_add_co_ci_u32 s29, s29, s35
	v_readfirstlane_b32 s28, v4
	s_wait_alu 0xfffe
	s_delay_alu instid0(VALU_DEP_1)
	s_mul_u64 s[30:31], s[30:31], s[28:29]
	s_wait_alu 0xfffe
	s_mul_hi_u32 s35, s28, s31
	s_mul_i32 s34, s28, s31
	s_mul_hi_u32 s2, s28, s30
	s_mul_i32 s33, s29, s30
	s_wait_alu 0xfffe
	s_add_nc_u64 s[34:35], s[2:3], s[34:35]
	s_mul_hi_u32 s27, s29, s30
	s_mul_hi_u32 s28, s29, s31
	s_wait_alu 0xfffe
	s_add_co_u32 s2, s34, s33
	s_add_co_ci_u32 s2, s35, s27
	s_mul_i32 s30, s29, s31
	s_add_co_ci_u32 s31, s28, 0
	s_wait_alu 0xfffe
	s_add_nc_u64 s[30:31], s[2:3], s[30:31]
	s_wait_alu 0xfffe
	v_add_co_u32 v6, s2, v4, s30
	s_delay_alu instid0(VALU_DEP_1) | instskip(SKIP_1) | instid1(VALU_DEP_1)
	s_cmp_lg_u32 s2, 0
	s_add_co_ci_u32 s2, s29, s31
	v_mul_hi_u32 v16, v9, v6
	s_wait_alu 0xfffe
	v_mad_co_u64_u32 v[4:5], null, v9, s2, 0
	v_mad_co_u64_u32 v[12:13], null, v10, v6, 0
	;; [unrolled: 1-line block ×3, first 2 shown]
	s_delay_alu instid0(VALU_DEP_3) | instskip(SKIP_1) | instid1(VALU_DEP_4)
	v_add_co_u32 v4, vcc_lo, v16, v4
	s_wait_alu 0xfffd
	v_add_co_ci_u32_e32 v5, vcc_lo, 0, v5, vcc_lo
	s_delay_alu instid0(VALU_DEP_2) | instskip(SKIP_1) | instid1(VALU_DEP_2)
	v_add_co_u32 v4, vcc_lo, v4, v12
	s_wait_alu 0xfffd
	v_add_co_ci_u32_e32 v4, vcc_lo, v5, v13, vcc_lo
	s_wait_alu 0xfffd
	v_add_co_ci_u32_e32 v5, vcc_lo, 0, v15, vcc_lo
	s_delay_alu instid0(VALU_DEP_2) | instskip(SKIP_1) | instid1(VALU_DEP_2)
	v_add_co_u32 v12, vcc_lo, v4, v14
	s_wait_alu 0xfffd
	v_add_co_ci_u32_e32 v6, vcc_lo, 0, v5, vcc_lo
	s_delay_alu instid0(VALU_DEP_2) | instskip(SKIP_1) | instid1(VALU_DEP_3)
	v_mul_lo_u32 v13, s25, v12
	v_mad_co_u64_u32 v[4:5], null, s24, v12, 0
	v_mul_lo_u32 v14, s24, v6
	s_delay_alu instid0(VALU_DEP_2) | instskip(NEXT) | instid1(VALU_DEP_2)
	v_sub_co_u32 v4, vcc_lo, v9, v4
	v_add3_u32 v5, v5, v14, v13
	s_delay_alu instid0(VALU_DEP_1) | instskip(SKIP_1) | instid1(VALU_DEP_1)
	v_sub_nc_u32_e32 v13, v10, v5
	s_wait_alu 0xfffd
	v_subrev_co_ci_u32_e64 v13, s2, s25, v13, vcc_lo
	v_add_co_u32 v14, s2, v12, 2
	s_wait_alu 0xf1ff
	v_add_co_ci_u32_e64 v15, s2, 0, v6, s2
	v_sub_co_u32 v16, s2, v4, s24
	v_sub_co_ci_u32_e32 v5, vcc_lo, v10, v5, vcc_lo
	s_wait_alu 0xf1ff
	v_subrev_co_ci_u32_e64 v13, s2, 0, v13, s2
	s_delay_alu instid0(VALU_DEP_3) | instskip(NEXT) | instid1(VALU_DEP_3)
	v_cmp_le_u32_e32 vcc_lo, s24, v16
	v_cmp_eq_u32_e64 s2, s25, v5
	s_wait_alu 0xfffd
	v_cndmask_b32_e64 v16, 0, -1, vcc_lo
	v_cmp_le_u32_e32 vcc_lo, s25, v13
	s_wait_alu 0xfffd
	v_cndmask_b32_e64 v17, 0, -1, vcc_lo
	v_cmp_le_u32_e32 vcc_lo, s24, v4
	;; [unrolled: 3-line block ×3, first 2 shown]
	s_wait_alu 0xfffd
	v_cndmask_b32_e64 v18, 0, -1, vcc_lo
	v_cmp_eq_u32_e32 vcc_lo, s25, v13
	s_wait_alu 0xf1ff
	s_delay_alu instid0(VALU_DEP_2)
	v_cndmask_b32_e64 v4, v18, v4, s2
	s_wait_alu 0xfffd
	v_cndmask_b32_e32 v13, v17, v16, vcc_lo
	v_add_co_u32 v16, vcc_lo, v12, 1
	s_wait_alu 0xfffd
	v_add_co_ci_u32_e32 v17, vcc_lo, 0, v6, vcc_lo
	s_delay_alu instid0(VALU_DEP_3) | instskip(SKIP_1) | instid1(VALU_DEP_2)
	v_cmp_ne_u32_e32 vcc_lo, 0, v13
	s_wait_alu 0xfffd
	v_cndmask_b32_e32 v5, v17, v15, vcc_lo
	v_cndmask_b32_e32 v13, v16, v14, vcc_lo
	v_cmp_ne_u32_e32 vcc_lo, 0, v4
	s_wait_alu 0xfffd
	s_delay_alu instid0(VALU_DEP_3) | instskip(NEXT) | instid1(VALU_DEP_3)
	v_cndmask_b32_e32 v6, v6, v5, vcc_lo
	v_cndmask_b32_e32 v5, v12, v13, vcc_lo
.LBB0_4:                                ;   in Loop: Header=BB0_2 Depth=1
	s_wait_alu 0xfffe
	s_and_not1_saveexec_b32 s2, s26
	s_cbranch_execz .LBB0_6
; %bb.5:                                ;   in Loop: Header=BB0_2 Depth=1
	v_cvt_f32_u32_e32 v4, s24
	s_sub_co_i32 s26, 0, s24
	s_delay_alu instid0(VALU_DEP_1) | instskip(NEXT) | instid1(TRANS32_DEP_1)
	v_rcp_iflag_f32_e32 v4, v4
	v_mul_f32_e32 v4, 0x4f7ffffe, v4
	s_delay_alu instid0(VALU_DEP_1) | instskip(SKIP_1) | instid1(VALU_DEP_1)
	v_cvt_u32_f32_e32 v4, v4
	s_wait_alu 0xfffe
	v_mul_lo_u32 v5, s26, v4
	s_delay_alu instid0(VALU_DEP_1) | instskip(NEXT) | instid1(VALU_DEP_1)
	v_mul_hi_u32 v5, v4, v5
	v_add_nc_u32_e32 v4, v4, v5
	s_delay_alu instid0(VALU_DEP_1) | instskip(NEXT) | instid1(VALU_DEP_1)
	v_mul_hi_u32 v4, v9, v4
	v_mul_lo_u32 v5, v4, s24
	v_add_nc_u32_e32 v6, 1, v4
	s_delay_alu instid0(VALU_DEP_2) | instskip(NEXT) | instid1(VALU_DEP_1)
	v_sub_nc_u32_e32 v5, v9, v5
	v_subrev_nc_u32_e32 v12, s24, v5
	v_cmp_le_u32_e32 vcc_lo, s24, v5
	s_wait_alu 0xfffd
	s_delay_alu instid0(VALU_DEP_2) | instskip(NEXT) | instid1(VALU_DEP_1)
	v_dual_cndmask_b32 v5, v5, v12 :: v_dual_cndmask_b32 v4, v4, v6
	v_cmp_le_u32_e32 vcc_lo, s24, v5
	s_delay_alu instid0(VALU_DEP_2) | instskip(SKIP_1) | instid1(VALU_DEP_1)
	v_add_nc_u32_e32 v6, 1, v4
	s_wait_alu 0xfffd
	v_dual_cndmask_b32 v5, v4, v6 :: v_dual_mov_b32 v6, v3
.LBB0_6:                                ;   in Loop: Header=BB0_2 Depth=1
	s_wait_alu 0xfffe
	s_or_b32 exec_lo, exec_lo, s2
	s_delay_alu instid0(VALU_DEP_1) | instskip(NEXT) | instid1(VALU_DEP_2)
	v_mul_lo_u32 v4, v6, s24
	v_mul_lo_u32 v14, v5, s25
	s_load_b64 s[26:27], s[18:19], 0x0
	v_mad_co_u64_u32 v[12:13], null, v5, s24, 0
	s_load_b64 s[24:25], s[16:17], 0x0
	s_add_nc_u64 s[20:21], s[20:21], 1
	s_add_nc_u64 s[16:17], s[16:17], 8
	s_wait_alu 0xfffe
	v_cmp_ge_u64_e64 s2, s[20:21], s[10:11]
	s_add_nc_u64 s[18:19], s[18:19], 8
	s_add_nc_u64 s[22:23], s[22:23], 8
	v_add3_u32 v4, v13, v14, v4
	v_sub_co_u32 v9, vcc_lo, v9, v12
	s_wait_alu 0xfffd
	s_delay_alu instid0(VALU_DEP_2) | instskip(SKIP_2) | instid1(VALU_DEP_1)
	v_sub_co_ci_u32_e32 v4, vcc_lo, v10, v4, vcc_lo
	s_and_b32 vcc_lo, exec_lo, s2
	s_wait_kmcnt 0x0
	v_mul_lo_u32 v10, s26, v4
	v_mul_lo_u32 v12, s27, v9
	v_mad_co_u64_u32 v[7:8], null, s26, v9, v[7:8]
	v_mul_lo_u32 v4, s24, v4
	v_mul_lo_u32 v13, s25, v9
	v_mad_co_u64_u32 v[1:2], null, s24, v9, v[1:2]
	s_delay_alu instid0(VALU_DEP_4) | instskip(NEXT) | instid1(VALU_DEP_2)
	v_add3_u32 v8, v12, v8, v10
	v_add3_u32 v2, v13, v2, v4
	s_wait_alu 0xfffe
	s_cbranch_vccnz .LBB0_9
; %bb.7:                                ;   in Loop: Header=BB0_2 Depth=1
	v_dual_mov_b32 v10, v6 :: v_dual_mov_b32 v9, v5
	s_branch .LBB0_2
.LBB0_8:
	v_dual_mov_b32 v1, v7 :: v_dual_mov_b32 v2, v8
	v_dual_mov_b32 v5, v9 :: v_dual_mov_b32 v6, v10
.LBB0_9:
	s_load_b64 s[0:1], s[0:1], 0x28
	v_and_b32_e32 v3, 1, v11
	v_mul_hi_u32 v9, 0x9d89d8a, v0
	s_lshl_b64 s[10:11], s[10:11], 3
	s_wait_alu 0xfffe
	s_add_nc_u64 s[2:3], s[14:15], s[10:11]
	s_wait_kmcnt 0x0
	v_cmp_gt_u64_e32 vcc_lo, s[0:1], v[5:6]
	v_cmp_le_u64_e64 s1, s[0:1], v[5:6]
	v_cmp_eq_u32_e64 s0, 1, v3
                                        ; implicit-def: $vgpr3
	s_delay_alu instid0(VALU_DEP_2) | instskip(NEXT) | instid1(SALU_CYCLE_1)
	s_and_saveexec_b32 s14, s1
	s_xor_b32 s1, exec_lo, s14
; %bb.10:
	v_mul_u32_u24_e32 v3, 26, v9
                                        ; implicit-def: $vgpr9
                                        ; implicit-def: $vgpr7_vgpr8
	s_delay_alu instid0(VALU_DEP_1)
	v_sub_nc_u32_e32 v3, v0, v3
                                        ; implicit-def: $vgpr0
; %bb.11:
	s_wait_alu 0xfffe
	s_or_saveexec_b32 s1, s1
	s_load_b64 s[2:3], s[2:3], 0x0
	v_cndmask_b32_e64 v4, 0, 0x153, s0
	s_delay_alu instid0(VALU_DEP_1)
	v_lshlrev_b32_e32 v20, 2, v4
	s_xor_b32 exec_lo, exec_lo, s1
	s_cbranch_execz .LBB0_15
; %bb.12:
	s_add_nc_u64 s[10:11], s[12:13], s[10:11]
	v_lshlrev_b64_e32 v[7:8], 2, v[7:8]
	s_load_b64 s[10:11], s[10:11], 0x0
	s_wait_kmcnt 0x0
	v_mul_lo_u32 v3, s11, v5
	v_mul_lo_u32 v12, s10, v6
	v_mad_co_u64_u32 v[10:11], null, s10, v5, 0
	s_delay_alu instid0(VALU_DEP_1) | instskip(SKIP_1) | instid1(VALU_DEP_2)
	v_add3_u32 v11, v11, v12, v3
	v_mul_u32_u24_e32 v3, 26, v9
	v_lshlrev_b64_e32 v[9:10], 2, v[10:11]
	s_delay_alu instid0(VALU_DEP_2) | instskip(NEXT) | instid1(VALU_DEP_1)
	v_sub_nc_u32_e32 v3, v0, v3
	v_lshlrev_b32_e32 v11, 2, v3
	s_delay_alu instid0(VALU_DEP_3) | instskip(SKIP_1) | instid1(VALU_DEP_4)
	v_add_co_u32 v0, s0, s4, v9
	s_wait_alu 0xf1ff
	v_add_co_ci_u32_e64 v9, s0, s5, v10, s0
	s_mov_b32 s4, exec_lo
	s_delay_alu instid0(VALU_DEP_2) | instskip(SKIP_1) | instid1(VALU_DEP_2)
	v_add_co_u32 v7, s0, v0, v7
	s_wait_alu 0xf1ff
	v_add_co_ci_u32_e64 v8, s0, v9, v8, s0
	v_add3_u32 v0, 0, v20, v11
	s_delay_alu instid0(VALU_DEP_3) | instskip(SKIP_1) | instid1(VALU_DEP_3)
	v_add_co_u32 v9, s0, v7, v11
	s_wait_alu 0xf1ff
	v_add_co_ci_u32_e64 v10, s0, 0, v8, s0
	s_clause 0xc
	global_load_b32 v12, v[9:10], off
	global_load_b32 v13, v[9:10], off offset:104
	global_load_b32 v14, v[9:10], off offset:208
	;; [unrolled: 1-line block ×12, first 2 shown]
	v_add_nc_u32_e32 v10, 0x400, v0
	s_wait_loadcnt 0xb
	ds_store_2addr_b32 v0, v12, v13 offset1:26
	s_wait_loadcnt 0x9
	ds_store_2addr_b32 v0, v14, v15 offset0:52 offset1:78
	s_wait_loadcnt 0x7
	ds_store_2addr_b32 v0, v16, v17 offset0:104 offset1:130
	;; [unrolled: 2-line block ×5, first 2 shown]
	s_wait_loadcnt 0x0
	ds_store_b32 v0, v9 offset:1248
	v_cmpx_eq_u32_e32 25, v3
	s_cbranch_execz .LBB0_14
; %bb.13:
	global_load_b32 v7, v[7:8], off offset:1352
	v_mov_b32_e32 v3, 25
	s_wait_loadcnt 0x0
	ds_store_b32 v0, v7 offset:1252
.LBB0_14:
	s_wait_alu 0xfffe
	s_or_b32 exec_lo, exec_lo, s4
.LBB0_15:
	s_delay_alu instid0(SALU_CYCLE_1)
	s_or_b32 exec_lo, exec_lo, s1
	v_lshl_add_u32 v0, v4, 2, 0
	v_lshlrev_b32_e32 v9, 2, v3
	global_wb scope:SCOPE_SE
	s_wait_dscnt 0x0
	s_wait_kmcnt 0x0
	s_barrier_signal -1
	s_barrier_wait -1
	global_inv scope:SCOPE_SE
	v_add_nc_u32_e32 v19, v0, v9
	v_sub_nc_u32_e32 v10, v0, v9
	s_mov_b32 s1, exec_lo
                                        ; implicit-def: $vgpr7_vgpr8
	ds_load_u16 v13, v19
	ds_load_u16 v14, v10 offset:1352
	s_wait_dscnt 0x0
	v_add_f16_e32 v12, v14, v13
	v_sub_f16_e32 v11, v13, v14
	v_cmpx_ne_u32_e32 0, v3
	s_wait_alu 0xfffe
	s_xor_b32 s1, exec_lo, s1
	s_cbranch_execz .LBB0_17
; %bb.16:
	v_mov_b32_e32 v4, 0
	v_add_f16_e32 v12, v14, v13
	v_sub_f16_e32 v13, v13, v14
	s_delay_alu instid0(VALU_DEP_3) | instskip(NEXT) | instid1(VALU_DEP_1)
	v_lshlrev_b64_e32 v[7:8], 2, v[3:4]
	v_add_co_u32 v7, s0, s8, v7
	s_wait_alu 0xf1ff
	s_delay_alu instid0(VALU_DEP_2)
	v_add_co_ci_u32_e64 v8, s0, s9, v8, s0
	global_load_b32 v7, v[7:8], off offset:1300
	ds_load_u16 v8, v10 offset:1354
	ds_load_u16 v11, v19 offset:2
	s_wait_dscnt 0x0
	v_add_f16_e32 v14, v8, v11
	v_sub_f16_e32 v8, v11, v8
	s_wait_loadcnt 0x0
	v_lshrrev_b32_e32 v15, 16, v7
	s_delay_alu instid0(VALU_DEP_1) | instskip(NEXT) | instid1(VALU_DEP_3)
	v_fma_f16 v16, -v13, v15, v12
	v_fma_f16 v17, v14, v15, -v8
	v_fma_f16 v11, v14, v15, v8
	v_fma_f16 v12, v13, v15, v12
	s_delay_alu instid0(VALU_DEP_4) | instskip(NEXT) | instid1(VALU_DEP_4)
	v_fmac_f16_e32 v16, v7, v14
	v_fmac_f16_e32 v17, v13, v7
	s_delay_alu instid0(VALU_DEP_4) | instskip(NEXT) | instid1(VALU_DEP_4)
	v_fmac_f16_e32 v11, v13, v7
	v_fma_f16 v12, -v7, v14, v12
	v_dual_mov_b32 v8, v4 :: v_dual_mov_b32 v7, v3
	s_delay_alu instid0(VALU_DEP_4)
	v_pack_b32_f16 v13, v16, v17
	ds_store_b32 v10, v13 offset:1352
.LBB0_17:
	s_wait_alu 0xfffe
	s_and_not1_saveexec_b32 s0, s1
	s_cbranch_execz .LBB0_19
; %bb.18:
	ds_load_b32 v4, v0 offset:676
	v_mov_b32_e32 v7, 0
	v_mov_b32_e32 v8, 0
	s_wait_dscnt 0x0
	v_pk_mul_f16 v4, 0xc0004000, v4
	ds_store_b32 v0, v4 offset:676
.LBB0_19:
	s_wait_alu 0xfffe
	s_or_b32 exec_lo, exec_lo, s0
	v_lshlrev_b64_e32 v[7:8], 2, v[7:8]
	s_add_nc_u64 s[0:1], s[8:9], 0x514
	v_perm_b32 v11, v11, v12, 0x5040100
	s_wait_alu 0xfffe
	s_delay_alu instid0(VALU_DEP_2)
	v_add_co_u32 v7, s0, s0, v7
	s_wait_alu 0xf1ff
	v_add_co_ci_u32_e64 v8, s0, s1, v8, s0
	v_cmp_gt_u32_e64 s0, 13, v3
	s_clause 0x4
	global_load_b32 v4, v[7:8], off offset:104
	global_load_b32 v13, v[7:8], off offset:208
	;; [unrolled: 1-line block ×5, first 2 shown]
	ds_store_b32 v19, v11
	ds_load_b32 v11, v19 offset:104
	ds_load_b32 v12, v10 offset:1248
	s_wait_dscnt 0x1
	v_lshrrev_b32_e32 v17, 16, v11
	s_wait_dscnt 0x0
	v_lshrrev_b32_e32 v18, 16, v12
	v_add_f16_e32 v21, v11, v12
	v_sub_f16_e32 v11, v11, v12
	s_delay_alu instid0(VALU_DEP_3) | instskip(SKIP_3) | instid1(VALU_DEP_1)
	v_add_f16_e32 v12, v18, v17
	v_sub_f16_e32 v17, v17, v18
	s_wait_loadcnt 0x4
	v_lshrrev_b32_e32 v22, 16, v4
	v_fma_f16 v18, v11, v22, v21
	s_delay_alu instid0(VALU_DEP_3) | instskip(SKIP_2) | instid1(VALU_DEP_4)
	v_fma_f16 v23, v12, v22, v17
	v_fma_f16 v21, -v11, v22, v21
	v_fma_f16 v17, v12, v22, -v17
	v_fma_f16 v18, -v4, v12, v18
	s_delay_alu instid0(VALU_DEP_4) | instskip(NEXT) | instid1(VALU_DEP_4)
	v_fmac_f16_e32 v23, v11, v4
	v_fmac_f16_e32 v21, v4, v12
	s_delay_alu instid0(VALU_DEP_4) | instskip(NEXT) | instid1(VALU_DEP_3)
	v_fmac_f16_e32 v17, v11, v4
	v_pack_b32_f16 v4, v18, v23
	s_wait_loadcnt 0x3
	v_lshrrev_b32_e32 v18, 16, v13
	s_delay_alu instid0(VALU_DEP_3)
	v_pack_b32_f16 v11, v21, v17
	ds_store_b32 v19, v4 offset:104
	ds_store_b32 v10, v11 offset:1248
	ds_load_b32 v4, v19 offset:208
	ds_load_b32 v11, v10 offset:1144
	s_wait_dscnt 0x1
	v_lshrrev_b32_e32 v12, 16, v4
	s_wait_dscnt 0x0
	v_lshrrev_b32_e32 v17, 16, v11
	v_add_f16_e32 v21, v4, v11
	v_sub_f16_e32 v4, v4, v11
	s_delay_alu instid0(VALU_DEP_3) | instskip(SKIP_1) | instid1(VALU_DEP_3)
	v_add_f16_e32 v11, v17, v12
	v_sub_f16_e32 v12, v12, v17
	v_fma_f16 v17, v4, v18, v21
	v_fma_f16 v21, -v4, v18, v21
	s_delay_alu instid0(VALU_DEP_3) | instskip(SKIP_1) | instid1(VALU_DEP_4)
	v_fma_f16 v22, v11, v18, v12
	v_fma_f16 v12, v11, v18, -v12
	v_fma_f16 v17, -v13, v11, v17
	s_delay_alu instid0(VALU_DEP_4) | instskip(NEXT) | instid1(VALU_DEP_4)
	v_fmac_f16_e32 v21, v13, v11
	v_fmac_f16_e32 v22, v4, v13
	s_delay_alu instid0(VALU_DEP_4) | instskip(NEXT) | instid1(VALU_DEP_2)
	v_fmac_f16_e32 v12, v4, v13
	v_pack_b32_f16 v4, v17, v22
	s_delay_alu instid0(VALU_DEP_2)
	v_pack_b32_f16 v11, v21, v12
	ds_store_b32 v19, v4 offset:208
	ds_store_b32 v10, v11 offset:1144
	ds_load_b32 v4, v19 offset:312
	ds_load_b32 v11, v10 offset:1040
	s_wait_loadcnt 0x2
	v_lshrrev_b32_e32 v17, 16, v14
	s_wait_dscnt 0x1
	v_lshrrev_b32_e32 v12, 16, v4
	s_wait_dscnt 0x0
	v_lshrrev_b32_e32 v13, 16, v11
	v_add_f16_e32 v18, v4, v11
	v_sub_f16_e32 v4, v4, v11
	s_delay_alu instid0(VALU_DEP_3) | instskip(SKIP_1) | instid1(VALU_DEP_3)
	v_add_f16_e32 v11, v13, v12
	v_sub_f16_e32 v12, v12, v13
	v_fma_f16 v13, v4, v17, v18
	v_fma_f16 v18, -v4, v17, v18
	s_delay_alu instid0(VALU_DEP_3) | instskip(SKIP_1) | instid1(VALU_DEP_4)
	v_fma_f16 v21, v11, v17, v12
	v_fma_f16 v12, v11, v17, -v12
	v_fma_f16 v13, -v14, v11, v13
	s_delay_alu instid0(VALU_DEP_4) | instskip(NEXT) | instid1(VALU_DEP_4)
	v_fmac_f16_e32 v18, v14, v11
	v_fmac_f16_e32 v21, v4, v14
	s_delay_alu instid0(VALU_DEP_4) | instskip(SKIP_2) | instid1(VALU_DEP_3)
	v_fmac_f16_e32 v12, v4, v14
	s_wait_loadcnt 0x1
	v_lshrrev_b32_e32 v14, 16, v15
	v_pack_b32_f16 v4, v13, v21
	s_delay_alu instid0(VALU_DEP_3)
	v_pack_b32_f16 v11, v18, v12
	ds_store_b32 v19, v4 offset:312
	ds_store_b32 v10, v11 offset:1040
	ds_load_b32 v4, v19 offset:416
	ds_load_b32 v11, v10 offset:936
	s_wait_dscnt 0x1
	v_lshrrev_b32_e32 v12, 16, v4
	s_wait_dscnt 0x0
	v_lshrrev_b32_e32 v13, 16, v11
	v_add_f16_e32 v17, v4, v11
	v_sub_f16_e32 v4, v4, v11
	s_delay_alu instid0(VALU_DEP_3) | instskip(SKIP_1) | instid1(VALU_DEP_3)
	v_add_f16_e32 v11, v13, v12
	v_sub_f16_e32 v12, v12, v13
	v_fma_f16 v13, v4, v14, v17
	v_fma_f16 v17, -v4, v14, v17
	s_delay_alu instid0(VALU_DEP_3) | instskip(SKIP_1) | instid1(VALU_DEP_4)
	v_fma_f16 v18, v11, v14, v12
	v_fma_f16 v12, v11, v14, -v12
	v_fma_f16 v13, -v15, v11, v13
	s_delay_alu instid0(VALU_DEP_4) | instskip(SKIP_4) | instid1(VALU_DEP_2)
	v_fmac_f16_e32 v17, v15, v11
	s_wait_loadcnt 0x0
	v_lshrrev_b32_e32 v14, 16, v16
	v_fmac_f16_e32 v18, v4, v15
	v_fmac_f16_e32 v12, v4, v15
	v_pack_b32_f16 v4, v13, v18
	s_delay_alu instid0(VALU_DEP_2)
	v_pack_b32_f16 v11, v17, v12
	ds_store_b32 v19, v4 offset:416
	ds_store_b32 v10, v11 offset:936
	ds_load_b32 v4, v19 offset:520
	ds_load_b32 v11, v10 offset:832
	s_wait_dscnt 0x1
	v_lshrrev_b32_e32 v12, 16, v4
	s_wait_dscnt 0x0
	v_lshrrev_b32_e32 v13, 16, v11
	v_add_f16_e32 v15, v4, v11
	v_sub_f16_e32 v4, v4, v11
	s_delay_alu instid0(VALU_DEP_3) | instskip(SKIP_1) | instid1(VALU_DEP_3)
	v_add_f16_e32 v11, v13, v12
	v_sub_f16_e32 v12, v12, v13
	v_fma_f16 v13, v4, v14, v15
	v_fma_f16 v15, -v4, v14, v15
	s_delay_alu instid0(VALU_DEP_3) | instskip(SKIP_1) | instid1(VALU_DEP_4)
	v_fma_f16 v17, v11, v14, v12
	v_fma_f16 v12, v11, v14, -v12
	v_fma_f16 v13, -v16, v11, v13
	s_delay_alu instid0(VALU_DEP_4) | instskip(NEXT) | instid1(VALU_DEP_4)
	v_fmac_f16_e32 v15, v16, v11
	v_fmac_f16_e32 v17, v4, v16
	s_delay_alu instid0(VALU_DEP_4) | instskip(NEXT) | instid1(VALU_DEP_2)
	v_fmac_f16_e32 v12, v4, v16
	v_pack_b32_f16 v4, v13, v17
	s_delay_alu instid0(VALU_DEP_2)
	v_pack_b32_f16 v11, v15, v12
	ds_store_b32 v19, v4 offset:520
	ds_store_b32 v10, v11 offset:832
	s_and_saveexec_b32 s1, s0
	s_cbranch_execz .LBB0_21
; %bb.20:
	global_load_b32 v4, v[7:8], off offset:624
	ds_load_b32 v7, v19 offset:624
	ds_load_b32 v8, v10 offset:728
	s_wait_dscnt 0x1
	v_lshrrev_b32_e32 v11, 16, v7
	s_wait_dscnt 0x0
	v_lshrrev_b32_e32 v12, 16, v8
	v_add_f16_e32 v13, v7, v8
	v_sub_f16_e32 v7, v7, v8
	s_delay_alu instid0(VALU_DEP_3) | instskip(SKIP_3) | instid1(VALU_DEP_1)
	v_add_f16_e32 v8, v12, v11
	v_sub_f16_e32 v11, v11, v12
	s_wait_loadcnt 0x0
	v_lshrrev_b32_e32 v14, 16, v4
	v_fma_f16 v12, v7, v14, v13
	s_delay_alu instid0(VALU_DEP_3) | instskip(SKIP_2) | instid1(VALU_DEP_4)
	v_fma_f16 v15, v8, v14, v11
	v_fma_f16 v13, -v7, v14, v13
	v_fma_f16 v11, v8, v14, -v11
	v_fma_f16 v12, -v4, v8, v12
	s_delay_alu instid0(VALU_DEP_4) | instskip(NEXT) | instid1(VALU_DEP_4)
	v_fmac_f16_e32 v15, v7, v4
	v_fmac_f16_e32 v13, v4, v8
	s_delay_alu instid0(VALU_DEP_4) | instskip(NEXT) | instid1(VALU_DEP_3)
	v_fmac_f16_e32 v11, v7, v4
	v_pack_b32_f16 v4, v12, v15
	s_delay_alu instid0(VALU_DEP_2)
	v_pack_b32_f16 v7, v13, v11
	ds_store_b32 v19, v4 offset:624
	ds_store_b32 v10, v7 offset:728
.LBB0_21:
	s_wait_alu 0xfffe
	s_or_b32 exec_lo, exec_lo, s1
	v_add3_u32 v4, 0, v9, v20
	global_wb scope:SCOPE_SE
	s_wait_dscnt 0x0
	s_barrier_signal -1
	s_barrier_wait -1
	global_inv scope:SCOPE_SE
	global_wb scope:SCOPE_SE
	s_barrier_signal -1
	s_barrier_wait -1
	global_inv scope:SCOPE_SE
	ds_load_b32 v7, v19
	ds_load_2addr_b32 v[10:11], v4 offset0:26 offset1:52
	v_add_nc_u32_e32 v8, 0x400, v4
	ds_load_2addr_b32 v[16:17], v8 offset0:30 offset1:56
	ds_load_2addr_b32 v[21:22], v4 offset0:78 offset1:104
	v_add_nc_u32_e32 v8, 0x200, v4
	ds_load_2addr_b32 v[23:24], v4 offset0:130 offset1:156
	ds_load_2addr_b32 v[25:26], v4 offset0:182 offset1:208
	;; [unrolled: 1-line block ×3, first 2 shown]
	v_mad_u32_u24 v9, v3, 48, v4
	global_wb scope:SCOPE_SE
	s_wait_dscnt 0x0
	s_barrier_signal -1
	s_barrier_wait -1
	global_inv scope:SCOPE_SE
	v_lshrrev_b32_e32 v18, 16, v7
	v_pk_add_f16 v12, v7, v10
	s_delay_alu instid0(VALU_DEP_1)
	v_pk_add_f16 v13, v12, v11
	v_pk_add_f16 v12, v10, v17 neg_lo:[0,1] neg_hi:[0,1]
	v_pk_add_f16 v14, v17, v10
	v_pk_add_f16 v29, v16, v11
	v_pk_add_f16 v15, v11, v16 neg_lo:[0,1] neg_hi:[0,1]
	v_pk_add_f16 v10, v13, v21
	v_lshrrev_b32_e32 v13, 16, v12
	v_pk_mul_f16 v11, 0xb770, v12 op_sel_hi:[0,1]
	v_lshrrev_b32_e32 v30, 16, v14
	v_pk_mul_f16 v31, 0xba95, v15 op_sel_hi:[0,1]
	v_pk_add_f16 v33, v10, v22
	v_mul_f16_e32 v34, 0xba95, v13
	v_mul_f16_e32 v36, 0xbbf1, v13
	;; [unrolled: 1-line block ×4, first 2 shown]
	v_pk_add_f16 v13, v33, v23
	v_pk_fma_f16 v10, 0x3b15, v14, v11 op_sel:[0,0,1] op_sel_hi:[0,1,0]
	v_pk_fma_f16 v11, 0x3b15, v14, v11 op_sel:[0,0,1] op_sel_hi:[0,1,0] neg_lo:[0,0,1] neg_hi:[0,0,1]
	v_lshrrev_b32_e32 v32, 16, v15
	v_mul_f16_e32 v35, 0x388b, v30
	v_pk_add_f16 v13, v13, v24
	v_mul_f16_e32 v37, 0x2fb7, v30
	v_mul_f16_e32 v39, 0xb5ac, v30
	;; [unrolled: 1-line block ×3, first 2 shown]
	v_bfi_b32 v33, 0xffff, v10, v11
	v_pk_add_f16 v13, v13, v25
	v_fmamk_f16 v41, v14, 0x388b, v34
	v_fmamk_f16 v42, v12, 0x3a95, v35
	v_fmac_f16_e32 v35, 0xba95, v12
	v_fmamk_f16 v44, v12, 0x3bf1, v37
	v_pk_add_f16 v13, v13, v26
	v_fmac_f16_e32 v37, 0xbbf1, v12
	v_fmamk_f16 v46, v12, 0x3b7b, v39
	v_fmac_f16_e32 v39, 0xbb7b, v12
	v_fmamk_f16 v47, v14, 0xb9fd, v40
	v_pk_add_f16 v13, v13, v27
	v_fmamk_f16 v48, v12, 0x394e, v30
	v_pk_add_f16 v33, v7, v33
	v_lshrrev_b32_e32 v49, 16, v29
	v_fmac_f16_e32 v30, 0xb94e, v12
	v_pk_add_f16 v13, v13, v28
	v_fma_f16 v34, v14, 0x388b, -v34
	v_fmamk_f16 v43, v14, 0x2fb7, v36
	v_add_f16_e32 v41, v7, v41
	v_add_f16_e32 v42, v18, v42
	v_pk_add_f16 v13, v13, v16
	v_pk_fma_f16 v16, 0x388b, v29, v31 op_sel:[0,0,1] op_sel_hi:[0,1,0]
	v_add_f16_e32 v35, v18, v35
	v_add_f16_e32 v44, v18, v44
	;; [unrolled: 1-line block ×3, first 2 shown]
	v_pk_add_f16 v13, v13, v17
	v_pk_fma_f16 v17, 0x388b, v29, v31 op_sel:[0,0,1] op_sel_hi:[0,1,0] neg_lo:[0,0,1] neg_hi:[0,0,1]
	v_fma_f16 v31, v14, 0xb9fd, -v40
	v_mul_f16_e32 v40, 0xbb7b, v32
	v_add_f16_e32 v46, v18, v46
	v_add_f16_e32 v39, v18, v39
	v_bfi_b32 v50, 0xffff, v16, v17
	v_add_f16_e32 v48, v18, v48
	v_fmamk_f16 v51, v29, 0xb5ac, v40
	v_mul_f16_e32 v52, 0xb5ac, v49
	v_add_f16_e32 v18, v18, v30
	v_pk_add_f16 v30, v50, v33
	v_mul_f16_e32 v33, 0xb3a8, v32
	v_fma_f16 v36, v14, 0x2fb7, -v36
	v_add_f16_e32 v34, v7, v34
	v_add_f16_e32 v43, v7, v43
	;; [unrolled: 1-line block ×3, first 2 shown]
	v_fmamk_f16 v50, v15, 0x3b7b, v52
	v_fma_f16 v40, v29, 0xb5ac, -v40
	v_fmamk_f16 v51, v29, 0xbbc4, v33
	v_mul_f16_e32 v53, 0xbbc4, v49
	v_fmamk_f16 v45, v14, 0xb5ac, v38
	v_fma_f16 v38, v14, 0xb5ac, -v38
	v_add_f16_e32 v36, v7, v36
	v_fmac_f16_e32 v52, 0xbb7b, v15
	v_add_f16_e32 v42, v50, v42
	v_add_f16_e32 v34, v40, v34
	;; [unrolled: 1-line block ×3, first 2 shown]
	v_fmamk_f16 v43, v15, 0x33a8, v53
	v_mul_f16_e32 v50, 0x394e, v32
	v_mul_f16_e32 v51, 0xb9fd, v49
	v_fma_f16 v33, v29, 0xbbc4, -v33
	v_fmac_f16_e32 v53, 0xb3a8, v15
	v_add_f16_e32 v45, v7, v45
	v_add_f16_e32 v38, v7, v38
	;; [unrolled: 1-line block ×4, first 2 shown]
	v_fmamk_f16 v44, v29, 0xb9fd, v50
	v_fmamk_f16 v52, v15, 0xb94e, v51
	v_add_f16_e32 v33, v33, v36
	v_add_f16_e32 v36, v53, v37
	v_fma_f16 v37, v29, 0xb9fd, -v50
	v_mul_f16_e32 v32, 0x3bf1, v32
	v_add_f16_e32 v47, v7, v47
	v_add_f16_e32 v44, v44, v45
	;; [unrolled: 1-line block ×3, first 2 shown]
	v_mul_f16_e32 v46, 0x2fb7, v49
	v_add_f16_e32 v37, v37, v38
	v_pk_add_f16 v38, v21, v28 neg_lo:[0,1] neg_hi:[0,1]
	v_fmamk_f16 v49, v29, 0x2fb7, v32
	v_fmac_f16_e32 v51, 0x394e, v15
	v_fmamk_f16 v50, v15, 0xbbf1, v46
	v_pk_add_f16 v21, v28, v21
	v_pk_mul_f16 v28, 0xbbf1, v38 op_sel_hi:[0,1]
	v_add_f16_e32 v47, v49, v47
	v_lshrrev_b32_e32 v49, 16, v38
	v_add_f16_e32 v31, v7, v31
	v_add_f16_e32 v39, v51, v39
	;; [unrolled: 1-line block ×3, first 2 shown]
	v_pk_fma_f16 v50, 0x2fb7, v21, v28 op_sel:[0,0,1] op_sel_hi:[0,1,0]
	v_pk_fma_f16 v28, 0x2fb7, v21, v28 op_sel:[0,0,1] op_sel_hi:[0,1,0] neg_lo:[0,0,1] neg_hi:[0,0,1]
	v_fma_f16 v32, v29, 0x2fb7, -v32
	v_mul_f16_e32 v51, 0xb3a8, v49
	v_lshrrev_b32_e32 v52, 16, v21
	v_fmac_f16_e32 v46, 0x3bf1, v15
	v_bfi_b32 v53, 0xffff, v50, v28
	v_add_f16_e32 v31, v32, v31
	v_fmamk_f16 v32, v21, 0xbbc4, v51
	v_mul_f16_e32 v54, 0xbbc4, v52
	v_add_f16_e32 v18, v46, v18
	v_mul_f16_e32 v46, 0x3b7b, v49
	v_pk_add_f16 v30, v53, v30
	v_add_f16_e32 v32, v32, v41
	v_fmamk_f16 v41, v38, 0x33a8, v54
	v_fma_f16 v51, v21, 0xbbc4, -v51
	v_fmamk_f16 v53, v21, 0xb5ac, v46
	v_mul_f16_e32 v55, 0xb5ac, v52
	v_fmac_f16_e32 v54, 0xb3a8, v38
	v_add_f16_e32 v41, v41, v42
	v_add_f16_e32 v34, v51, v34
	;; [unrolled: 1-line block ×3, first 2 shown]
	v_fmamk_f16 v42, v38, 0xbb7b, v55
	v_mul_f16_e32 v51, 0x3770, v49
	v_mul_f16_e32 v53, 0x3b15, v52
	v_add_f16_e32 v35, v54, v35
	v_fma_f16 v46, v21, 0xb5ac, -v46
	v_add_f16_e32 v42, v42, v43
	v_fmamk_f16 v43, v21, 0x3b15, v51
	v_fmamk_f16 v54, v38, 0xb770, v53
	v_fmac_f16_e32 v53, 0x3770, v38
	v_add_f16_e32 v33, v46, v33
	v_fma_f16 v46, v21, 0x3b15, -v51
	v_add_f16_e32 v43, v43, v44
	v_add_f16_e32 v44, v54, v45
	v_mul_f16_e32 v45, 0xba95, v49
	v_mul_f16_e32 v49, 0x388b, v52
	v_add_f16_e32 v37, v46, v37
	v_pk_add_f16 v46, v22, v27 neg_lo:[0,1] neg_hi:[0,1]
	v_pk_add_f16 v22, v27, v22
	v_fmamk_f16 v51, v21, 0x388b, v45
	v_add_f16_e32 v39, v53, v39
	v_fma_f16 v45, v21, 0x388b, -v45
	v_fmamk_f16 v52, v38, 0x3a95, v49
	v_lshrrev_b32_e32 v54, 16, v22
	v_add_f16_e32 v47, v51, v47
	v_lshrrev_b32_e32 v51, 16, v46
	v_pk_mul_f16 v27, 0xbb7b, v46 op_sel_hi:[0,1]
	v_add_f16_e32 v31, v45, v31
	v_mul_f16_e32 v56, 0xb9fd, v54
	v_fmac_f16_e32 v55, 0x3b7b, v38
	v_mul_f16_e32 v53, 0x394e, v51
	v_add_f16_e32 v48, v52, v48
	v_pk_fma_f16 v52, 0xb5ac, v22, v27 op_sel:[0,0,1] op_sel_hi:[0,1,0]
	v_pk_fma_f16 v27, 0xb5ac, v22, v27 op_sel:[0,0,1] op_sel_hi:[0,1,0] neg_lo:[0,0,1] neg_hi:[0,0,1]
	v_fmac_f16_e32 v49, 0xba95, v38
	v_fmamk_f16 v45, v22, 0xb9fd, v53
	v_fma_f16 v53, v22, 0xb9fd, -v53
	v_mul_f16_e32 v57, 0x3b15, v54
	v_add_f16_e32 v36, v55, v36
	v_bfi_b32 v55, 0xffff, v52, v27
	v_add_f16_e32 v32, v45, v32
	v_fmamk_f16 v45, v46, 0xb94e, v56
	v_add_f16_e32 v18, v49, v18
	v_mul_f16_e32 v49, 0x3770, v51
	v_add_f16_e32 v34, v53, v34
	v_mul_f16_e32 v53, 0xbbf1, v51
	v_add_f16_e32 v41, v45, v41
	v_fmamk_f16 v45, v46, 0xb770, v57
	v_pk_add_f16 v30, v55, v30
	v_fmamk_f16 v55, v22, 0x3b15, v49
	v_fma_f16 v49, v22, 0x3b15, -v49
	v_fmac_f16_e32 v56, 0x394e, v46
	v_add_f16_e32 v42, v45, v42
	v_fmamk_f16 v45, v22, 0x2fb7, v53
	v_add_f16_e32 v40, v55, v40
	v_add_f16_e32 v33, v49, v33
	v_fma_f16 v49, v22, 0x2fb7, -v53
	v_mul_f16_e32 v55, 0x2fb7, v54
	v_add_f16_e32 v43, v45, v43
	v_mul_f16_e32 v45, 0x33a8, v51
	v_add_f16_e32 v35, v56, v35
	v_add_f16_e32 v37, v49, v37
	v_pk_add_f16 v49, v23, v26 neg_lo:[0,1] neg_hi:[0,1]
	v_fmamk_f16 v56, v46, 0x3bf1, v55
	v_fmamk_f16 v53, v22, 0xbbc4, v45
	v_mul_f16_e32 v51, 0xbbc4, v54
	v_fmac_f16_e32 v55, 0xbbf1, v46
	v_pk_add_f16 v23, v26, v23
	v_add_f16_e32 v44, v56, v44
	v_add_f16_e32 v47, v53, v47
	v_lshrrev_b32_e32 v53, 16, v49
	v_fmamk_f16 v54, v46, 0xb3a8, v51
	v_pk_mul_f16 v26, 0xb94e, v49 op_sel_hi:[0,1]
	v_add_f16_e32 v39, v55, v39
	v_fma_f16 v45, v22, 0xbbc4, -v45
	v_mul_f16_e32 v55, 0x3bf1, v53
	v_lshrrev_b32_e32 v56, 16, v23
	v_fmac_f16_e32 v57, 0x3770, v46
	v_add_f16_e32 v48, v54, v48
	v_pk_fma_f16 v54, 0xb9fd, v23, v26 op_sel:[0,0,1] op_sel_hi:[0,1,0]
	v_pk_fma_f16 v26, 0xb9fd, v23, v26 op_sel:[0,0,1] op_sel_hi:[0,1,0] neg_lo:[0,0,1] neg_hi:[0,0,1]
	v_fmac_f16_e32 v51, 0x33a8, v46
	v_add_f16_e32 v31, v45, v31
	v_fmamk_f16 v45, v23, 0x2fb7, v55
	v_mul_f16_e32 v58, 0x2fb7, v56
	v_add_f16_e32 v36, v57, v36
	v_bfi_b32 v57, 0xffff, v54, v26
	v_add_f16_e32 v18, v51, v18
	v_mul_f16_e32 v51, 0xba95, v53
	v_add_f16_e32 v32, v45, v32
	v_fmamk_f16 v45, v49, 0xbbf1, v58
	v_fma_f16 v55, v23, 0x2fb7, -v55
	v_mul_f16_e32 v59, 0x388b, v56
	v_pk_add_f16 v30, v57, v30
	v_fmamk_f16 v57, v23, 0x388b, v51
	v_add_f16_e32 v41, v45, v41
	v_add_f16_e32 v34, v55, v34
	v_fmamk_f16 v45, v49, 0x3a95, v59
	v_mul_f16_e32 v55, 0x33a8, v53
	v_fma_f16 v51, v23, 0x388b, -v51
	v_fmac_f16_e32 v58, 0x3bf1, v49
	v_add_f16_e32 v40, v57, v40
	v_add_f16_e32 v42, v45, v42
	v_fmamk_f16 v45, v23, 0xbbc4, v55
	v_add_f16_e32 v33, v51, v33
	v_fma_f16 v51, v23, 0xbbc4, -v55
	v_mul_f16_e32 v57, 0xbbc4, v56
	v_add_f16_e32 v35, v58, v35
	v_add_f16_e32 v43, v45, v43
	v_mul_f16_e32 v45, 0x3770, v53
	v_mul_f16_e32 v53, 0x3b15, v56
	v_add_f16_e32 v37, v51, v37
	v_pk_add_f16 v51, v24, v25 neg_lo:[0,1] neg_hi:[0,1]
	v_fmamk_f16 v58, v49, 0xb3a8, v57
	v_fmac_f16_e32 v57, 0x33a8, v49
	v_fmamk_f16 v55, v23, 0x3b15, v45
	v_fmamk_f16 v56, v49, 0xb770, v53
	v_pk_add_f16 v24, v25, v24
	v_pk_mul_f16 v25, 0xb3a8, v51 op_sel_hi:[0,1]
	v_fmac_f16_e32 v59, 0xba95, v49
	v_add_f16_e32 v39, v57, v39
	v_add_f16_e32 v47, v55, v47
	;; [unrolled: 1-line block ×3, first 2 shown]
	v_lshrrev_b32_e32 v55, 16, v51
	v_pk_fma_f16 v56, 0xbbc4, v24, v25 op_sel:[0,0,1] op_sel_hi:[0,1,0]
	v_pk_fma_f16 v25, 0xbbc4, v24, v25 op_sel:[0,0,1] op_sel_hi:[0,1,0] neg_lo:[0,0,1] neg_hi:[0,0,1]
	v_lshrrev_b32_e32 v57, 16, v24
	v_add_f16_e32 v36, v59, v36
	v_add_f16_e32 v44, v58, v44
	v_fma_f16 v45, v23, 0x3b15, -v45
	v_mul_f16_e32 v58, 0x3770, v55
	v_fmac_f16_e32 v53, 0x3770, v49
	v_bfi_b32 v59, 0xffff, v56, v25
	v_mul_f16_e32 v60, 0x3b15, v57
	v_add_f16_e32 v31, v45, v31
	v_fmamk_f16 v45, v24, 0x3b15, v58
	v_add_f16_e32 v18, v53, v18
	v_pk_add_f16 v30, v59, v30
	v_fmamk_f16 v53, v51, 0xb770, v60
	v_mul_f16_e32 v59, 0xb94e, v55
	v_add_f16_e32 v32, v45, v32
	v_fma_f16 v45, v24, 0x3b15, -v58
	v_mul_f16_e32 v58, 0xb9fd, v57
	v_add_f16_e32 v41, v53, v41
	v_fmamk_f16 v53, v24, 0xb9fd, v59
	v_fmac_f16_e32 v60, 0x3770, v51
	v_add_f16_e32 v34, v45, v34
	v_mul_f16_e32 v45, 0x3a95, v55
	v_mul_f16_e32 v61, 0x388b, v57
	v_add_f16_e32 v40, v53, v40
	v_fmamk_f16 v53, v51, 0x394e, v58
	v_add_f16_e32 v35, v60, v35
	v_fmamk_f16 v60, v24, 0x388b, v45
	v_fma_f16 v45, v24, 0x388b, -v45
	v_mul_f16_e32 v55, 0xbb7b, v55
	v_add_f16_e32 v42, v53, v42
	v_fmamk_f16 v53, v51, 0xba95, v61
	v_mul_f16_e32 v57, 0xb5ac, v57
	v_add_f16_e32 v37, v45, v37
	v_fmamk_f16 v45, v24, 0xb5ac, v55
	v_pk_mul_f16 v14, 0xbbc4, v14 op_sel_hi:[0,1]
	v_add_f16_e32 v44, v53, v44
	v_fmamk_f16 v53, v51, 0x3b7b, v57
	v_pk_mul_f16 v29, 0x3b15, v29 op_sel_hi:[0,1]
	v_add_f16_e32 v45, v45, v47
	v_fma_f16 v55, v24, 0xb5ac, -v55
	v_pk_mul_f16 v21, 0xb9fd, v21 op_sel_hi:[0,1]
	v_add_f16_e32 v47, v53, v48
	v_pk_fma_f16 v48, 0xb3a8, v12, v14 op_sel:[0,0,1] op_sel_hi:[0,1,0]
	v_pk_fma_f16 v12, 0xb3a8, v12, v14 op_sel:[0,0,1] op_sel_hi:[0,1,0] neg_lo:[0,1,0] neg_hi:[0,1,0]
	v_pk_fma_f16 v14, 0x3770, v15, v29 op_sel:[0,0,1] op_sel_hi:[0,1,0]
	v_add_f16_e32 v31, v55, v31
	v_pack_b32_f16 v40, v40, v42
	v_alignbit_b32 v53, s0, v48, 16
	v_pk_add_f16 v12, v7, v12 op_sel:[1,0] op_sel_hi:[0,1]
	v_alignbit_b32 v55, s0, v14, 16
	v_pk_fma_f16 v15, 0x3770, v15, v29 op_sel:[0,0,1] op_sel_hi:[0,1,0] neg_lo:[0,1,0] neg_hi:[0,1,0]
	v_pk_fma_f16 v29, 0xb94e, v38, v21 op_sel:[0,0,1] op_sel_hi:[0,1,0]
	v_pk_add_f16 v42, v7, v53
	v_alignbit_b32 v53, s0, v7, 16
	v_pk_mul_f16 v22, 0x388b, v22 op_sel_hi:[0,1]
	v_pk_add_f16 v12, v15, v12
	v_alignbit_b32 v15, s0, v29, 16
	v_pk_add_f16 v42, v55, v42
	v_pk_add_f16 v48, v53, v48
	v_pk_fma_f16 v21, 0xb94e, v38, v21 op_sel:[0,0,1] op_sel_hi:[0,1,0] neg_lo:[0,1,0] neg_hi:[0,1,0]
	v_pk_fma_f16 v38, 0x3a95, v46, v22 op_sel:[0,0,1] op_sel_hi:[0,1,0]
	v_pk_mul_f16 v23, 0xb5ac, v23 op_sel_hi:[0,1]
	v_bfi_b32 v10, 0xffff, v11, v10
	v_pk_add_f16 v14, v14, v48
	v_pk_add_f16 v15, v15, v42
	;; [unrolled: 1-line block ×3, first 2 shown]
	v_alignbit_b32 v21, s0, v38, 16
	v_pk_fma_f16 v42, 0xbb7b, v49, v23 op_sel:[0,0,1] op_sel_hi:[0,1,0]
	v_pk_add_f16 v7, v7, v10
	v_bfi_b32 v10, 0xffff, v17, v16
	v_pk_fma_f16 v22, 0x3a95, v46, v22 op_sel:[0,0,1] op_sel_hi:[0,1,0] neg_lo:[0,1,0] neg_hi:[0,1,0]
	v_pk_add_f16 v14, v29, v14
	v_pk_add_f16 v11, v21, v15
	v_alignbit_b32 v15, s0, v42, 16
	v_pk_mul_f16 v21, 0x2fb7, v24 op_sel_hi:[0,1]
	v_pk_add_f16 v7, v10, v7
	v_bfi_b32 v10, 0xffff, v28, v50
	v_pk_add_f16 v12, v22, v12
	v_pk_add_f16 v14, v38, v14
	v_pk_fma_f16 v16, 0xbb7b, v49, v23 op_sel:[0,0,1] op_sel_hi:[0,1,0] neg_lo:[0,1,0] neg_hi:[0,1,0]
	v_pk_add_f16 v11, v15, v11
	v_pk_fma_f16 v15, 0x3bf1, v51, v21 op_sel:[0,0,1] op_sel_hi:[0,1,0]
	v_pk_add_f16 v7, v10, v7
	v_bfi_b32 v10, 0xffff, v27, v52
	v_pk_add_f16 v12, v16, v12
	v_pk_add_f16 v14, v42, v14
	v_alignbit_b32 v16, s0, v15, 16
	v_pk_fma_f16 v17, 0x3bf1, v51, v21 op_sel:[0,0,1] op_sel_hi:[0,1,0] neg_lo:[0,1,0] neg_hi:[0,1,0]
	v_fmac_f16_e32 v61, 0x3a95, v51
	v_fmac_f16_e32 v57, 0xbb7b, v51
	v_fma_f16 v59, v24, 0xb9fd, -v59
	v_fmac_f16_e32 v58, 0xb94e, v51
	v_pk_add_f16 v7, v10, v7
	v_bfi_b32 v10, 0xffff, v26, v54
	v_add_f16_e32 v43, v60, v43
	v_pk_add_f16 v11, v16, v11
	v_pk_add_f16 v12, v17, v12
	;; [unrolled: 1-line block ×3, first 2 shown]
	v_add_f16_e32 v39, v61, v39
	v_add_f16_e32 v18, v57, v18
	;; [unrolled: 1-line block ×4, first 2 shown]
	v_pk_add_f16 v7, v10, v7
	v_bfi_b32 v10, 0xffff, v25, v56
	v_pack_b32_f16 v21, v32, v41
	v_pack_b32_f16 v15, v45, v47
	;; [unrolled: 1-line block ×3, first 2 shown]
	v_alignbit_b32 v14, v14, v12, 16
	v_pack_b32_f16 v11, v11, v12
	v_pack_b32_f16 v12, v37, v39
	;; [unrolled: 1-line block ×5, first 2 shown]
	v_pk_add_f16 v7, v10, v7
	ds_store_2addr_b32 v9, v13, v30 offset1:1
	ds_store_2addr_b32 v9, v21, v40 offset0:2 offset1:3
	ds_store_2addr_b32 v9, v16, v15 offset0:4 offset1:5
	ds_store_2addr_b32 v9, v11, v14 offset0:6 offset1:7
	ds_store_2addr_b32 v9, v17, v12 offset0:8 offset1:9
	ds_store_2addr_b32 v9, v22, v18 offset0:10 offset1:11
	ds_store_b32 v9, v7 offset:48
	global_wb scope:SCOPE_SE
	s_wait_dscnt 0x0
	s_barrier_signal -1
	s_barrier_wait -1
	global_inv scope:SCOPE_SE
	ds_load_2addr_b32 v[13:14], v4 offset0:130 offset1:169
	ds_load_2addr_b32 v[9:10], v4 offset0:26 offset1:52
	;; [unrolled: 1-line block ×5, first 2 shown]
	ds_load_b32 v23, v19
	ds_load_b32 v24, v4 offset:1196
	v_lshrrev_b32_e32 v21, 16, v7
                                        ; implicit-def: $vgpr22
	s_and_saveexec_b32 s1, s0
	s_cbranch_execz .LBB0_23
; %bb.22:
	ds_load_2addr_b32 v[7:8], v8 offset0:28 offset1:197
	s_wait_dscnt 0x0
	v_lshrrev_b32_e32 v21, 16, v7
	v_lshrrev_b32_e32 v22, 16, v8
.LBB0_23:
	s_wait_alu 0xfffe
	s_or_b32 exec_lo, exec_lo, s1
	v_add_nc_u16 v32, v3, 0x82
	v_add_nc_u16 v31, v3, 0x68
	;; [unrolled: 1-line block ×5, first 2 shown]
	v_and_b32_e32 v36, 0xff, v32
	v_and_b32_e32 v35, 0xff, v31
	;; [unrolled: 1-line block ×5, first 2 shown]
	v_mul_lo_u16 v36, 0x4f, v36
	v_mul_lo_u16 v35, 0x4f, v35
	;; [unrolled: 1-line block ×5, first 2 shown]
	v_lshrrev_b16 v36, 10, v36
	v_lshrrev_b16 v35, 10, v35
	;; [unrolled: 1-line block ×5, first 2 shown]
	v_mul_lo_u16 v38, v36, 13
	v_mul_lo_u16 v39, v35, 13
	v_dual_mov_b32 v26, 0 :: v_dual_add_nc_u32 v25, -13, v3
	v_mul_lo_u16 v40, v34, 13
	v_mul_lo_u16 v41, v33, 13
	;; [unrolled: 1-line block ×3, first 2 shown]
	v_sub_nc_u16 v32, v32, v38
	v_sub_nc_u16 v31, v31, v39
	v_cndmask_b32_e64 v25, v25, v3, s0
	v_sub_nc_u16 v30, v30, v40
	v_sub_nc_u16 v29, v29, v41
	;; [unrolled: 1-line block ×3, first 2 shown]
	v_and_b32_e32 v32, 0xff, v32
	v_and_b32_e32 v31, 0xff, v31
	v_lshlrev_b64_e32 v[26:27], 2, v[25:26]
	v_and_b32_e32 v30, 0xff, v30
	v_and_b32_e32 v29, 0xff, v29
	;; [unrolled: 1-line block ×3, first 2 shown]
	v_lshlrev_b32_e32 v32, 2, v32
	v_lshlrev_b32_e32 v31, 2, v31
	;; [unrolled: 1-line block ×3, first 2 shown]
	v_add_co_u32 v26, s1, s8, v26
	v_lshlrev_b32_e32 v29, 2, v29
	v_lshlrev_b32_e32 v28, 2, v28
	s_wait_alu 0xf1ff
	v_add_co_ci_u32_e64 v27, s1, s9, v27, s1
	s_clause 0x5
	global_load_b32 v38, v32, s[8:9]
	global_load_b32 v39, v31, s[8:9]
	;; [unrolled: 1-line block ×5, first 2 shown]
	global_load_b32 v26, v[26:27], off
	v_cmp_lt_u32_e64 s1, 12, v3
	v_lshlrev_b32_e32 v25, 2, v25
	v_and_b32_e32 v33, 0xffff, v33
	v_and_b32_e32 v34, 0xffff, v34
	;; [unrolled: 1-line block ×3, first 2 shown]
	s_wait_alu 0xf1ff
	v_cndmask_b32_e64 v27, 0, 0x68, s1
	v_and_b32_e32 v36, 0xffff, v36
	v_mad_u32_u24 v33, 0x68, v33, 0
	v_mad_u32_u24 v34, 0x68, v34, 0
	;; [unrolled: 1-line block ×3, first 2 shown]
	v_add_nc_u32_e32 v27, 0, v27
	v_mad_u32_u24 v36, 0x68, v36, 0
	global_wb scope:SCOPE_SE
	s_wait_loadcnt_dscnt 0x0
	s_barrier_signal -1
	s_barrier_wait -1
	v_add3_u32 v25, v27, v25, v20
	v_and_b32_e32 v27, 0xffff, v37
	global_inv scope:SCOPE_SE
	v_mad_u32_u24 v27, 0x68, v27, 0
	s_delay_alu instid0(VALU_DEP_1)
	v_add3_u32 v27, v27, v28, v20
	v_add3_u32 v28, v33, v29, v20
	;; [unrolled: 1-line block ×5, first 2 shown]
	v_pk_mul_f16 v32, v38, v24 op_sel:[0,1]
	v_pk_mul_f16 v33, v39, v18 op_sel:[0,1]
	;; [unrolled: 1-line block ×6, first 2 shown]
	v_pk_fma_f16 v43, v38, v24, v32 op_sel:[0,0,1] op_sel_hi:[1,1,0]
	v_pk_fma_f16 v24, v38, v24, v32 op_sel:[0,0,1] op_sel_hi:[1,0,0] neg_lo:[1,0,0] neg_hi:[1,0,0]
	v_pk_fma_f16 v32, v39, v18, v33 op_sel:[0,0,1] op_sel_hi:[1,1,0]
	v_pk_fma_f16 v18, v39, v18, v33 op_sel:[0,0,1] op_sel_hi:[1,0,0] neg_lo:[1,0,0] neg_hi:[1,0,0]
	;; [unrolled: 2-line block ×6, first 2 shown]
	v_bfi_b32 v14, 0xffff, v38, v14
	v_bfi_b32 v17, 0xffff, v33, v17
	;; [unrolled: 1-line block ×6, first 2 shown]
	v_pk_add_f16 v14, v23, v14 neg_lo:[0,1] neg_hi:[0,1]
	v_pk_add_f16 v16, v10, v16 neg_lo:[0,1] neg_hi:[0,1]
	;; [unrolled: 1-line block ×6, first 2 shown]
	v_pk_fma_f16 v23, v23, 2.0, v14 op_sel_hi:[1,0,1] neg_lo:[0,0,1] neg_hi:[0,0,1]
	v_pk_fma_f16 v10, v10, 2.0, v16 op_sel_hi:[1,0,1] neg_lo:[0,0,1] neg_hi:[0,0,1]
	;; [unrolled: 1-line block ×6, first 2 shown]
	ds_store_2addr_b32 v25, v23, v14 offset1:13
	ds_store_2addr_b32 v27, v9, v15 offset1:13
	;; [unrolled: 1-line block ×6, first 2 shown]
	s_and_saveexec_b32 s1, s0
	s_cbranch_execz .LBB0_25
; %bb.24:
	v_add_nc_u16 v9, v3, 0x9c
	s_delay_alu instid0(VALU_DEP_1) | instskip(NEXT) | instid1(VALU_DEP_1)
	v_and_b32_e32 v10, 0xff, v9
	v_mul_lo_u16 v10, 0x4f, v10
	s_delay_alu instid0(VALU_DEP_1) | instskip(NEXT) | instid1(VALU_DEP_1)
	v_lshrrev_b16 v10, 10, v10
	v_mul_lo_u16 v10, v10, 13
	s_delay_alu instid0(VALU_DEP_1) | instskip(NEXT) | instid1(VALU_DEP_1)
	v_sub_nc_u16 v9, v9, v10
	v_and_b32_e32 v9, 0xff, v9
	s_delay_alu instid0(VALU_DEP_1) | instskip(SKIP_2) | instid1(VALU_DEP_1)
	v_lshlrev_b32_e32 v9, 2, v9
	global_load_b32 v10, v9, s[8:9]
	v_add3_u32 v9, 0, v9, v20
	v_add_nc_u32_e32 v9, 0x400, v9
	s_wait_loadcnt 0x0
	v_lshrrev_b32_e32 v11, 16, v10
	s_delay_alu instid0(VALU_DEP_1) | instskip(SKIP_1) | instid1(VALU_DEP_2)
	v_mul_f16_e32 v12, v22, v11
	v_mul_f16_e32 v11, v8, v11
	v_fmac_f16_e32 v12, v8, v10
	s_delay_alu instid0(VALU_DEP_2) | instskip(NEXT) | instid1(VALU_DEP_2)
	v_fma_f16 v8, v22, v10, -v11
	v_sub_f16_e32 v10, v7, v12
	s_delay_alu instid0(VALU_DEP_2) | instskip(NEXT) | instid1(VALU_DEP_2)
	v_sub_f16_e32 v8, v21, v8
	v_fma_f16 v7, v7, 2.0, -v10
	s_delay_alu instid0(VALU_DEP_2) | instskip(SKIP_1) | instid1(VALU_DEP_2)
	v_fma_f16 v11, v21, 2.0, -v8
	v_pack_b32_f16 v8, v10, v8
	v_pack_b32_f16 v7, v7, v11
	ds_store_2addr_b32 v9, v7, v8 offset0:56 offset1:69
.LBB0_25:
	s_wait_alu 0xfffe
	s_or_b32 exec_lo, exec_lo, s1
	v_mul_u32_u24_e32 v7, 12, v3
	global_wb scope:SCOPE_SE
	s_wait_dscnt 0x0
	s_barrier_signal -1
	s_barrier_wait -1
	global_inv scope:SCOPE_SE
	v_lshlrev_b32_e32 v7, 2, v7
	v_add_nc_u32_e32 v8, 0x200, v4
	s_clause 0x2
	global_load_b128 v[29:32], v7, s[8:9] offset:52
	global_load_b128 v[36:39], v7, s[8:9] offset:68
	;; [unrolled: 1-line block ×3, first 2 shown]
	ds_load_2addr_b32 v[10:11], v4 offset0:130 offset1:156
	ds_load_2addr_b32 v[17:18], v4 offset0:182 offset1:208
	;; [unrolled: 1-line block ×3, first 2 shown]
	v_add_nc_u32_e32 v7, 0x400, v4
	ds_load_2addr_b32 v[46:47], v4 offset0:78 offset1:104
	ds_load_b32 v21, v19
	ds_load_2addr_b32 v[48:49], v8 offset0:106 offset1:132
	ds_load_2addr_b32 v[50:51], v7 offset0:30 offset1:56
	global_wb scope:SCOPE_SE
	s_wait_loadcnt_dscnt 0x0
	s_barrier_signal -1
	s_barrier_wait -1
	global_inv scope:SCOPE_SE
	v_lshrrev_b32_e32 v19, 16, v10
	v_lshrrev_b32_e32 v20, 16, v11
	;; [unrolled: 1-line block ×21, first 2 shown]
	v_mul_f16_e32 v62, v8, v25
	v_mul_f16_e32 v63, v8, v44
	v_lshrrev_b32_e32 v12, 16, v31
	v_lshrrev_b32_e32 v59, 16, v41
	;; [unrolled: 1-line block ×3, first 2 shown]
	v_mul_f16_e32 v34, v9, v27
	v_mul_f16_e32 v64, v9, v45
	;; [unrolled: 1-line block ×12, first 2 shown]
	v_fmac_f16_e32 v62, v29, v44
	v_fma_f16 v44, v29, v25, -v63
	v_lshrrev_b32_e32 v58, 16, v40
	v_mul_f16_e32 v28, v12, v52
	v_mul_f16_e32 v65, v12, v46
	v_mul_f16_e32 v67, v10, v14
	v_mul_f16_e32 v70, v18, v35
	v_mul_f16_e32 v14, v55, v59
	v_mul_f16_e32 v59, v49, v59
	v_mul_f16_e32 v12, v57, v61
	v_mul_f16_e32 v61, v51, v61
	v_fmac_f16_e32 v34, v30, v45
	v_fma_f16 v35, v30, v27, -v64
	v_fmac_f16_e32 v23, v10, v36
	v_fmac_f16_e32 v8, v11, v37
	v_fma_f16 v10, v20, v37, -v68
	v_fmac_f16_e32 v9, v17, v38
	v_fma_f16 v11, v22, v38, -v69
	v_fmac_f16_e32 v16, v18, v39
	v_fmac_f16_e32 v13, v50, v42
	v_fma_f16 v18, v56, v42, -v60
	v_add_f16_e32 v37, v62, v21
	v_add_f16_e32 v38, v44, v24
	v_mul_f16_e32 v15, v54, v58
	v_mul_f16_e32 v58, v48, v58
	v_fmac_f16_e32 v28, v31, v46
	v_fma_f16 v29, v31, v52, -v65
	v_fmac_f16_e32 v26, v32, v47
	v_fma_f16 v27, v32, v53, -v66
	v_fma_f16 v25, v19, v36, -v67
	;; [unrolled: 1-line block ×3, first 2 shown]
	v_fmac_f16_e32 v14, v49, v41
	v_fma_f16 v19, v55, v41, -v59
	v_fmac_f16_e32 v12, v51, v43
	v_fma_f16 v17, v57, v43, -v61
	v_add_f16_e32 v32, v34, v13
	v_add_f16_e32 v42, v35, v18
	v_sub_f16_e32 v33, v34, v13
	v_sub_f16_e32 v43, v35, v18
	v_add_f16_e32 v34, v37, v34
	v_add_f16_e32 v35, v38, v35
	v_fmac_f16_e32 v15, v48, v40
	v_fma_f16 v20, v54, v40, -v58
	v_add_f16_e32 v40, v44, v17
	v_sub_f16_e32 v41, v44, v17
	v_add_f16_e32 v39, v28, v14
	v_add_f16_e32 v44, v29, v19
	v_sub_f16_e32 v36, v28, v14
	v_sub_f16_e32 v45, v29, v19
	v_add_f16_e32 v28, v34, v28
	v_add_f16_e32 v29, v35, v29
	v_sub_f16_e32 v46, v27, v20
	v_add_f16_e32 v47, v26, v15
	v_add_f16_e32 v48, v27, v20
	;; [unrolled: 3-line block ×3, first 2 shown]
	v_add_f16_e32 v50, v23, v16
	v_sub_f16_e32 v51, v25, v22
	v_add_f16_e32 v52, v25, v22
	v_sub_f16_e32 v53, v23, v16
	v_add_f16_e32 v25, v27, v25
	v_add_f16_e32 v23, v26, v23
	;; [unrolled: 1-line block ×3, first 2 shown]
	v_sub_f16_e32 v31, v62, v12
	v_mul_f16_e32 v37, 0xb770, v41
	v_mul_f16_e32 v38, 0x3b15, v40
	;; [unrolled: 1-line block ×8, first 2 shown]
	v_add_f16_e32 v23, v23, v8
	v_add_f16_e32 v25, v25, v10
	v_mul_f16_e32 v57, 0x2fb7, v40
	v_mul_f16_e32 v59, 0xb5ac, v40
	;; [unrolled: 1-line block ×9, first 2 shown]
	v_fmamk_f16 v34, v30, 0x3b15, v37
	v_fmamk_f16 v35, v31, 0x3770, v38
	v_fma_f16 v37, v30, 0x3b15, -v37
	v_fmac_f16_e32 v38, 0xb770, v31
	v_fmamk_f16 v99, v30, 0x388b, v54
	v_fmamk_f16 v100, v31, 0x3a95, v55
	v_fma_f16 v54, v30, 0x388b, -v54
	v_fmac_f16_e32 v55, 0xba95, v31
	v_fmamk_f16 v101, v30, 0x2fb7, v56
	v_fma_f16 v56, v30, 0x2fb7, -v56
	v_fmamk_f16 v103, v30, 0xb5ac, v58
	v_fma_f16 v58, v30, 0xb5ac, -v58
	;; [unrolled: 2-line block ×4, first 2 shown]
	v_add_f16_e32 v23, v23, v9
	v_add_f16_e32 v25, v25, v11
	v_mul_f16_e32 v67, 0xbbc4, v42
	v_mul_f16_e32 v68, 0x394e, v43
	v_mul_f16_e32 v69, 0xb9fd, v42
	v_mul_f16_e32 v70, 0x3bf1, v43
	v_mul_f16_e32 v71, 0x2fb7, v42
	v_mul_f16_e32 v43, 0x3770, v43
	v_mul_f16_e32 v42, 0x3b15, v42
	v_mul_f16_e32 v72, 0xbbf1, v45
	v_mul_f16_e32 v73, 0x2fb7, v44
	v_mul_f16_e32 v74, 0xb3a8, v45
	v_mul_f16_e32 v75, 0xbbc4, v44
	v_mul_f16_e32 v76, 0x3b7b, v45
	v_mul_f16_e32 v78, 0x3770, v45
	v_mul_f16_e32 v79, 0xba95, v45
	v_mul_f16_e32 v45, 0xb94e, v45
	v_fmamk_f16 v102, v31, 0x3bf1, v57
	v_fmac_f16_e32 v57, 0xbbf1, v31
	v_fmamk_f16 v104, v31, 0x3b7b, v59
	v_fmac_f16_e32 v59, 0xbb7b, v31
	;; [unrolled: 2-line block ×4, first 2 shown]
	v_fmamk_f16 v31, v32, 0x388b, v62
	v_fmamk_f16 v41, v33, 0x3a95, v63
	v_fma_f16 v62, v32, 0x388b, -v62
	v_fmac_f16_e32 v63, 0xba95, v33
	v_fmamk_f16 v109, v32, 0xb5ac, v64
	v_fmamk_f16 v110, v33, 0x3b7b, v65
	v_fma_f16 v64, v32, 0xb5ac, -v64
	v_fmac_f16_e32 v65, 0xbb7b, v33
	v_fmamk_f16 v111, v32, 0xbbc4, v66
	v_add_f16_e32 v28, v34, v21
	v_add_f16_e32 v29, v37, v21
	;; [unrolled: 1-line block ×18, first 2 shown]
	v_mul_f16_e32 v77, 0xb5ac, v44
	v_mul_f16_e32 v80, 0x3b15, v44
	;; [unrolled: 1-line block ×12, first 2 shown]
	v_fmamk_f16 v112, v33, 0x33a8, v67
	v_fma_f16 v66, v32, 0xbbc4, -v66
	v_fmac_f16_e32 v67, 0xb3a8, v33
	v_fmamk_f16 v113, v32, 0xb9fd, v68
	v_fmamk_f16 v114, v33, 0xb94e, v69
	v_fma_f16 v68, v32, 0xb9fd, -v68
	v_fmac_f16_e32 v69, 0x394e, v33
	v_fmamk_f16 v115, v32, 0x2fb7, v70
	;; [unrolled: 4-line block ×4, first 2 shown]
	v_fma_f16 v43, v39, 0x2fb7, -v72
	v_fmamk_f16 v72, v39, 0xbbc4, v74
	v_fma_f16 v74, v39, 0xbbc4, -v74
	v_fmamk_f16 v119, v39, 0xb5ac, v76
	;; [unrolled: 2-line block ×6, first 2 shown]
	v_fmamk_f16 v123, v36, 0x33a8, v75
	v_fmac_f16_e32 v75, 0xb3a8, v36
	v_add_f16_e32 v100, v102, v24
	v_add_f16_e32 v57, v57, v24
	;; [unrolled: 1-line block ×19, first 2 shown]
	v_mul_f16_e32 v89, 0x3b15, v48
	v_mul_f16_e32 v90, 0x2fb7, v48
	;; [unrolled: 1-line block ×9, first 2 shown]
	v_fmac_f16_e32 v73, 0xbbf1, v36
	v_fmamk_f16 v124, v36, 0xbb7b, v77
	v_fmac_f16_e32 v77, 0x3b7b, v36
	v_fmamk_f16 v125, v36, 0xb770, v80
	;; [unrolled: 2-line block ×5, first 2 shown]
	v_fma_f16 v82, v47, 0xb5ac, -v82
	v_fma_f16 v128, 0xb9fd, v47, v83
	v_fma_f16 v83, v47, 0xb9fd, -v83
	v_fma_f16 v129, 0x3b15, v47, v84
	;; [unrolled: 2-line block ×5, first 2 shown]
	v_fma_f16 v46, v47, 0x388b, -v46
	v_fmamk_f16 v47, v49, 0x3b7b, v87
	v_fma_f16 v133, 0xb94e, v49, v88
	v_fmac_f16_e32 v88, 0x394e, v49
	v_add_f16_e32 v41, v112, v100
	v_add_f16_e32 v54, v66, v56
	;; [unrolled: 1-line block ×15, first 2 shown]
	v_mul_f16_e32 v97, 0x388b, v52
	v_mul_f16_e32 v98, 0x33a8, v51
	v_fmac_f16_e32 v87, 0xbb7b, v49
	v_fma_f16 v134, 0xb770, v49, v89
	v_fmac_f16_e32 v89, 0x3770, v49
	v_fma_f16 v135, 0x3bf1, v49, v90
	;; [unrolled: 2-line block ×4, first 2 shown]
	v_fmac_f16_e32 v48, 0x3a95, v49
	v_fmamk_f16 v49, v50, 0xb9fd, v92
	v_fma_f16 v138, 0x394e, v53, v93
	v_fma_f16 v92, v50, 0xb9fd, -v92
	v_fma_f16 v139, 0x2fb7, v50, v94
	v_fma_f16 v140, 0xbbf1, v53, v95
	v_fma_f16 v94, v50, 0x2fb7, -v94
	v_fmac_f16_e32 v95, 0x3bf1, v53
	v_fma_f16 v141, 0x388b, v50, v96
	v_add_f16_e32 v57, v114, v102
	v_add_f16_e32 v59, v69, v59
	;; [unrolled: 1-line block ×16, first 2 shown]
	v_add_f16_e64 v34, v129, v34
	v_add_f16_e32 v13, v14, v13
	v_add_f16_e32 v14, v15, v18
	v_fmac_f16_e32 v93, 0xb94e, v53
	v_fma_f16 v142, 0x3a95, v53, v97
	v_add_f16_e32 v41, v125, v57
	v_add_f16_e32 v43, v80, v59
	;; [unrolled: 1-line block ×6, first 2 shown]
	v_add_f16_e64 v31, v133, v31
	v_add_f16_e64 v35, v134, v35
	v_add_f16_e32 v36, v84, v37
	v_add_f16_e32 v37, v89, v38
	v_add_f16_e64 v38, v130, v40
	v_add_f16_e32 v40, v85, v42
	v_add_f16_e64 v22, v138, v27
	v_add_f16_e32 v25, v92, v28
	v_add_f16_e32 v15, v94, v32
	;; [unrolled: 1-line block ×3, first 2 shown]
	v_add_f16_e64 v27, v141, v34
	v_add_f16_e32 v12, v13, v12
	v_add_f16_e32 v13, v14, v17
	v_fma_f16 v14, v50, 0x388b, -v96
	v_mul_f16_e32 v28, 0xbbc4, v52
	v_mul_f16_e32 v32, 0x3770, v51
	v_fma_f16 v33, v50, 0xbbc4, -v98
	v_mul_f16_e32 v34, 0x3b15, v52
	v_add_f16_e32 v65, v118, v105
	v_add_f16_e32 v21, v39, v21
	v_add_f16_e64 v30, v128, v30
	v_add_f16_e64 v39, v135, v41
	v_add_f16_e32 v41, v90, v43
	v_add_f16_e64 v42, v131, v45
	v_add_f16_e64 v43, v136, v54
	v_add_f16_e32 v20, v49, v26
	v_add_f16_e32 v16, v93, v29
	v_add_f16_e64 v26, v140, v31
	v_fmac_f16_e32 v97, 0xba95, v53
	v_add_f16_e64 v29, v142, v35
	v_add_f16_e32 v14, v14, v36
	v_fmamk_f16 v31, v53, 0xb3a8, v28
	v_fmamk_f16 v35, v50, 0x3b15, v32
	v_add_f16_e32 v33, v33, v40
	v_fmamk_f16 v36, v53, 0xb770, v34
	v_sub_f16_e32 v40, v10, v11
	v_add_f16_e32 v58, v127, v65
	v_add_f16_e32 v24, v44, v24
	v_add_f16_e64 v19, v139, v30
	v_fmamk_f16 v17, v50, 0xbbc4, v98
	v_add_f16_e32 v30, v97, v37
	v_fmac_f16_e32 v28, 0x33a8, v53
	v_add_f16_e32 v31, v31, v39
	v_mul_f16_e32 v37, 0xbb7b, v51
	v_add_f16_e32 v35, v35, v42
	v_add_f16_e32 v36, v36, v43
	v_mul_f16_e32 v39, 0xb5ac, v52
	v_add_f16_e32 v42, v8, v9
	v_mul_f16_e32 v43, 0xb3a8, v40
	v_add_f16_e32 v10, v10, v11
	v_add_f16_e64 v23, v137, v58
	v_add_f16_e32 v21, v46, v21
	v_add_f16_e32 v24, v48, v24
	;; [unrolled: 1-line block ×4, first 2 shown]
	v_fmamk_f16 v38, v50, 0xb5ac, v37
	v_fmamk_f16 v41, v53, 0x3b7b, v39
	v_fma_f16 v11, v50, 0xb5ac, -v37
	v_fmac_f16_e32 v39, 0xbb7b, v53
	v_sub_f16_e32 v8, v8, v9
	v_fmamk_f16 v9, v42, 0xbbc4, v43
	v_mul_f16_e32 v37, 0xbbc4, v10
	v_add_f16_e32 v23, v41, v23
	v_add_f16_e32 v11, v11, v21
	;; [unrolled: 1-line block ×4, first 2 shown]
	v_fmamk_f16 v20, v8, 0x33a8, v37
	v_mul_f16_e32 v24, 0x3770, v40
	v_fma_f16 v39, v42, 0xbbc4, -v43
	v_fmac_f16_e32 v37, 0xb3a8, v8
	v_mul_f16_e32 v41, 0x3b15, v10
	v_add_f16_e32 v20, v20, v22
	v_fmamk_f16 v22, v42, 0x3b15, v24
	v_add_f16_e32 v25, v39, v25
	v_add_f16_e32 v16, v37, v16
	v_fmamk_f16 v37, v8, 0xb770, v41
	v_mul_f16_e32 v39, 0xb94e, v40
	v_add_f16_e32 v19, v22, v19
	v_fma_f16 v22, v42, 0x3b15, -v24
	v_add_f16_e32 v60, v70, v60
	v_add_f16_e32 v24, v37, v26
	v_fmamk_f16 v26, v42, 0xb9fd, v39
	v_mul_f16_e32 v37, 0xb9fd, v10
	v_mul_f16_e32 v43, 0x388b, v10
	v_add_f16_e32 v61, v71, v61
	v_add_f16_e32 v64, v117, v103
	v_add_f16_e32 v26, v26, v27
	v_fmamk_f16 v27, v8, 0x394e, v37
	v_fmac_f16_e32 v37, 0xb94e, v8
	v_add_f16_e32 v55, v79, v60
	v_fmac_f16_e32 v41, 0x3770, v8
	v_add_f16_e32 v15, v22, v15
	v_mul_f16_e32 v22, 0x3a95, v40
	v_fma_f16 v39, v42, 0xb9fd, -v39
	v_add_f16_e32 v27, v27, v29
	v_add_f16_e32 v29, v37, v30
	v_fmamk_f16 v30, v8, 0xba95, v43
	v_mul_f16_e32 v37, 0xbb7b, v40
	v_add_f16_e32 v56, v81, v61
	v_add_f16_e32 v57, v122, v64
	;; [unrolled: 1-line block ×3, first 2 shown]
	v_fma_f16 v32, v50, 0x3b15, -v32
	v_add_f16_e32 v18, v41, v18
	v_fmamk_f16 v41, v42, 0x388b, v22
	v_add_f16_e32 v14, v39, v14
	v_fma_f16 v22, v42, 0x388b, -v22
	v_mul_f16_e32 v39, 0xb5ac, v10
	v_add_f16_e32 v30, v30, v31
	v_fmamk_f16 v31, v42, 0xb5ac, v37
	v_add_f16_e32 v45, v91, v56
	v_add_f16_e64 v47, v132, v57
	v_fmac_f16_e32 v34, 0x3770, v53
	v_add_f16_e32 v32, v32, v44
	v_add_f16_e32 v22, v22, v33
	v_fmamk_f16 v33, v8, 0x3b7b, v39
	v_fma_f16 v37, v42, 0xb5ac, -v37
	v_add_f16_e32 v31, v31, v35
	v_mul_f16_e32 v35, 0x3bf1, v40
	v_mul_f16_e32 v10, 0x2fb7, v10
	v_add_f16_e32 v34, v34, v45
	v_add_f16_e32 v38, v38, v47
	;; [unrolled: 1-line block ×4, first 2 shown]
	v_fmac_f16_e32 v39, 0xbb7b, v8
	v_fmamk_f16 v36, v42, 0x2fb7, v35
	v_fmamk_f16 v37, v8, 0xbbf1, v10
	v_fma_f16 v35, v42, 0x2fb7, -v35
	v_fmac_f16_e32 v10, 0x3bf1, v8
	v_fmac_f16_e32 v43, 0x3a95, v8
	v_add_f16_e32 v17, v41, v17
	v_pack_b32_f16 v12, v12, v13
	v_pack_b32_f16 v9, v9, v20
	v_add_f16_e32 v8, v39, v34
	v_add_f16_e32 v34, v36, v38
	;; [unrolled: 1-line block ×5, first 2 shown]
	v_pack_b32_f16 v13, v19, v24
	v_pack_b32_f16 v19, v26, v27
	v_add_f16_e32 v28, v43, v28
	ds_store_2addr_b32 v4, v12, v9 offset1:26
	ds_store_2addr_b32 v4, v13, v19 offset0:52 offset1:78
	v_pack_b32_f16 v9, v17, v30
	v_pack_b32_f16 v12, v31, v33
	;; [unrolled: 1-line block ×9, first 2 shown]
	ds_store_2addr_b32 v4, v9, v12 offset0:104 offset1:130
	ds_store_2addr_b32 v4, v13, v10 offset0:156 offset1:182
	;; [unrolled: 1-line block ×4, first 2 shown]
	ds_store_b32 v4, v16 offset:1248
	global_wb scope:SCOPE_SE
	s_wait_dscnt 0x0
	s_barrier_signal -1
	s_barrier_wait -1
	global_inv scope:SCOPE_SE
	s_and_saveexec_b32 s0, vcc_lo
	s_cbranch_execz .LBB0_27
; %bb.26:
	v_mul_lo_u32 v7, s3, v5
	v_mul_lo_u32 v8, s2, v6
	v_mad_co_u64_u32 v[5:6], null, s2, v5, 0
	v_mov_b32_e32 v4, 0
	v_lshl_add_u32 v29, v3, 2, v0
	v_lshlrev_b64_e32 v[0:1], 2, v[1:2]
	v_add_nc_u32_e32 v21, 0x9c, v3
	v_add_nc_u32_e32 v25, 0xb6, v3
	;; [unrolled: 1-line block ×3, first 2 shown]
	v_add3_u32 v6, v6, v8, v7
	v_add_nc_u32_e32 v7, 26, v3
	v_dual_mov_b32 v8, v4 :: v_dual_add_nc_u32 v9, 52, v3
	v_lshlrev_b64_e32 v[15:16], 2, v[3:4]
	s_delay_alu instid0(VALU_DEP_4)
	v_lshlrev_b64_e32 v[5:6], 2, v[5:6]
	v_dual_mov_b32 v10, v4 :: v_dual_add_nc_u32 v11, 0x4e, v3
	ds_load_2addr_b32 v[13:14], v29 offset1:26
	v_mov_b32_e32 v20, v4
	ds_load_2addr_b32 v[17:18], v29 offset0:104 offset1:130
	v_add_co_u32 v2, vcc_lo, s6, v5
	s_wait_alu 0xfffd
	v_add_co_ci_u32_e32 v12, vcc_lo, s7, v6, vcc_lo
	v_lshlrev_b64_e32 v[5:6], 2, v[7:8]
	s_delay_alu instid0(VALU_DEP_3) | instskip(SKIP_1) | instid1(VALU_DEP_3)
	v_add_co_u32 v30, vcc_lo, v2, v0
	s_wait_alu 0xfffd
	v_add_co_ci_u32_e32 v31, vcc_lo, v12, v1, vcc_lo
	v_mov_b32_e32 v12, v4
	s_delay_alu instid0(VALU_DEP_3)
	v_add_co_u32 v7, vcc_lo, v30, v15
	v_add_nc_u32_e32 v15, 0x68, v3
	v_lshlrev_b64_e32 v[0:1], 2, v[9:10]
	s_wait_alu 0xfffd
	v_add_co_ci_u32_e32 v8, vcc_lo, v31, v16, vcc_lo
	v_dual_mov_b32 v16, v4 :: v_dual_add_nc_u32 v19, 0x82, v3
	v_add_co_u32 v5, vcc_lo, v30, v5
	v_lshlrev_b64_e32 v[11:12], 2, v[11:12]
	s_wait_alu 0xfffd
	v_add_co_ci_u32_e32 v6, vcc_lo, v31, v6, vcc_lo
	ds_load_2addr_b32 v[9:10], v29 offset0:52 offset1:78
	v_add_co_u32 v0, vcc_lo, v30, v0
	v_lshlrev_b64_e32 v[15:16], 2, v[15:16]
	v_mov_b32_e32 v22, v4
	s_wait_alu 0xfffd
	v_add_co_ci_u32_e32 v1, vcc_lo, v31, v1, vcc_lo
	v_add_co_u32 v11, vcc_lo, v30, v11
	v_lshlrev_b64_e32 v[19:20], 2, v[19:20]
	ds_load_2addr_b32 v[23:24], v29 offset0:156 offset1:182
	v_mov_b32_e32 v26, v4
	s_wait_alu 0xfffd
	v_add_co_ci_u32_e32 v12, vcc_lo, v31, v12, vcc_lo
	v_add_co_u32 v15, vcc_lo, v30, v15
	v_lshlrev_b64_e32 v[21:22], 2, v[21:22]
	s_wait_alu 0xfffd
	v_add_co_ci_u32_e32 v16, vcc_lo, v31, v16, vcc_lo
	v_add_co_u32 v19, vcc_lo, v30, v19
	v_lshlrev_b64_e32 v[25:26], 2, v[25:26]
	s_wait_alu 0xfffd
	v_add_co_ci_u32_e32 v20, vcc_lo, v31, v20, vcc_lo
	v_add_co_u32 v21, vcc_lo, v30, v21
	s_wait_alu 0xfffd
	v_add_co_ci_u32_e32 v22, vcc_lo, v31, v22, vcc_lo
	v_mov_b32_e32 v28, v4
	v_add_co_u32 v25, vcc_lo, v30, v25
	s_wait_alu 0xfffd
	v_add_co_ci_u32_e32 v26, vcc_lo, v31, v26, vcc_lo
	s_wait_dscnt 0x3
	s_clause 0x1
	global_store_b32 v[7:8], v13, off
	global_store_b32 v[5:6], v14, off
	s_wait_dscnt 0x1
	s_clause 0x3
	global_store_b32 v[0:1], v9, off
	global_store_b32 v[11:12], v10, off
	;; [unrolled: 1-line block ×4, first 2 shown]
	s_wait_dscnt 0x0
	s_clause 0x1
	global_store_b32 v[21:22], v23, off
	global_store_b32 v[25:26], v24, off
	v_dual_mov_b32 v8, v4 :: v_dual_add_nc_u32 v7, 0xea, v3
	v_add_nc_u32_e32 v9, 0x104, v3
	v_add_nc_u32_e32 v2, 0x400, v29
	v_lshlrev_b64_e32 v[5:6], 2, v[27:28]
	ds_load_2addr_b32 v[0:1], v29 offset0:208 offset1:234
	v_dual_mov_b32 v10, v4 :: v_dual_add_nc_u32 v13, 0x11e, v3
	v_lshlrev_b64_e32 v[7:8], 2, v[7:8]
	ds_load_2addr_b32 v[11:12], v2 offset0:4 offset1:30
	v_dual_mov_b32 v14, v4 :: v_dual_add_nc_u32 v3, 0x138, v3
	ds_load_b32 v15, v29 offset:1248
	v_add_co_u32 v5, vcc_lo, v30, v5
	v_lshlrev_b64_e32 v[9:10], 2, v[9:10]
	s_wait_alu 0xfffd
	v_add_co_ci_u32_e32 v6, vcc_lo, v31, v6, vcc_lo
	v_add_co_u32 v7, vcc_lo, v30, v7
	v_lshlrev_b64_e32 v[13:14], 2, v[13:14]
	s_wait_alu 0xfffd
	v_add_co_ci_u32_e32 v8, vcc_lo, v31, v8, vcc_lo
	v_add_co_u32 v9, vcc_lo, v30, v9
	v_lshlrev_b64_e32 v[2:3], 2, v[3:4]
	s_wait_alu 0xfffd
	v_add_co_ci_u32_e32 v10, vcc_lo, v31, v10, vcc_lo
	v_add_co_u32 v13, vcc_lo, v30, v13
	s_wait_alu 0xfffd
	v_add_co_ci_u32_e32 v14, vcc_lo, v31, v14, vcc_lo
	v_add_co_u32 v2, vcc_lo, v30, v2
	s_wait_alu 0xfffd
	v_add_co_ci_u32_e32 v3, vcc_lo, v31, v3, vcc_lo
	s_wait_dscnt 0x2
	s_clause 0x1
	global_store_b32 v[5:6], v0, off
	global_store_b32 v[7:8], v1, off
	s_wait_dscnt 0x1
	s_clause 0x1
	global_store_b32 v[9:10], v11, off
	global_store_b32 v[13:14], v12, off
	s_wait_dscnt 0x0
	global_store_b32 v[2:3], v15, off
.LBB0_27:
	s_nop 0
	s_sendmsg sendmsg(MSG_DEALLOC_VGPRS)
	s_endpgm
	.section	.rodata,"a",@progbits
	.p2align	6, 0x0
	.amdhsa_kernel fft_rtc_back_len338_factors_13_2_13_wgs_52_tpt_26_halfLds_half_op_CI_CI_unitstride_sbrr_C2R_dirReg
		.amdhsa_group_segment_fixed_size 0
		.amdhsa_private_segment_fixed_size 0
		.amdhsa_kernarg_size 104
		.amdhsa_user_sgpr_count 2
		.amdhsa_user_sgpr_dispatch_ptr 0
		.amdhsa_user_sgpr_queue_ptr 0
		.amdhsa_user_sgpr_kernarg_segment_ptr 1
		.amdhsa_user_sgpr_dispatch_id 0
		.amdhsa_user_sgpr_private_segment_size 0
		.amdhsa_wavefront_size32 1
		.amdhsa_uses_dynamic_stack 0
		.amdhsa_enable_private_segment 0
		.amdhsa_system_sgpr_workgroup_id_x 1
		.amdhsa_system_sgpr_workgroup_id_y 0
		.amdhsa_system_sgpr_workgroup_id_z 0
		.amdhsa_system_sgpr_workgroup_info 0
		.amdhsa_system_vgpr_workitem_id 0
		.amdhsa_next_free_vgpr 143
		.amdhsa_next_free_sgpr 39
		.amdhsa_reserve_vcc 1
		.amdhsa_float_round_mode_32 0
		.amdhsa_float_round_mode_16_64 0
		.amdhsa_float_denorm_mode_32 3
		.amdhsa_float_denorm_mode_16_64 3
		.amdhsa_fp16_overflow 0
		.amdhsa_workgroup_processor_mode 1
		.amdhsa_memory_ordered 1
		.amdhsa_forward_progress 0
		.amdhsa_round_robin_scheduling 0
		.amdhsa_exception_fp_ieee_invalid_op 0
		.amdhsa_exception_fp_denorm_src 0
		.amdhsa_exception_fp_ieee_div_zero 0
		.amdhsa_exception_fp_ieee_overflow 0
		.amdhsa_exception_fp_ieee_underflow 0
		.amdhsa_exception_fp_ieee_inexact 0
		.amdhsa_exception_int_div_zero 0
	.end_amdhsa_kernel
	.text
.Lfunc_end0:
	.size	fft_rtc_back_len338_factors_13_2_13_wgs_52_tpt_26_halfLds_half_op_CI_CI_unitstride_sbrr_C2R_dirReg, .Lfunc_end0-fft_rtc_back_len338_factors_13_2_13_wgs_52_tpt_26_halfLds_half_op_CI_CI_unitstride_sbrr_C2R_dirReg
                                        ; -- End function
	.section	.AMDGPU.csdata,"",@progbits
; Kernel info:
; codeLenInByte = 12016
; NumSgprs: 41
; NumVgprs: 143
; ScratchSize: 0
; MemoryBound: 0
; FloatMode: 240
; IeeeMode: 1
; LDSByteSize: 0 bytes/workgroup (compile time only)
; SGPRBlocks: 5
; VGPRBlocks: 17
; NumSGPRsForWavesPerEU: 41
; NumVGPRsForWavesPerEU: 143
; Occupancy: 10
; WaveLimiterHint : 1
; COMPUTE_PGM_RSRC2:SCRATCH_EN: 0
; COMPUTE_PGM_RSRC2:USER_SGPR: 2
; COMPUTE_PGM_RSRC2:TRAP_HANDLER: 0
; COMPUTE_PGM_RSRC2:TGID_X_EN: 1
; COMPUTE_PGM_RSRC2:TGID_Y_EN: 0
; COMPUTE_PGM_RSRC2:TGID_Z_EN: 0
; COMPUTE_PGM_RSRC2:TIDIG_COMP_CNT: 0
	.text
	.p2alignl 7, 3214868480
	.fill 96, 4, 3214868480
	.type	__hip_cuid_454ee5ee2a780ad2,@object ; @__hip_cuid_454ee5ee2a780ad2
	.section	.bss,"aw",@nobits
	.globl	__hip_cuid_454ee5ee2a780ad2
__hip_cuid_454ee5ee2a780ad2:
	.byte	0                               ; 0x0
	.size	__hip_cuid_454ee5ee2a780ad2, 1

	.ident	"AMD clang version 19.0.0git (https://github.com/RadeonOpenCompute/llvm-project roc-6.4.0 25133 c7fe45cf4b819c5991fe208aaa96edf142730f1d)"
	.section	".note.GNU-stack","",@progbits
	.addrsig
	.addrsig_sym __hip_cuid_454ee5ee2a780ad2
	.amdgpu_metadata
---
amdhsa.kernels:
  - .args:
      - .actual_access:  read_only
        .address_space:  global
        .offset:         0
        .size:           8
        .value_kind:     global_buffer
      - .offset:         8
        .size:           8
        .value_kind:     by_value
      - .actual_access:  read_only
        .address_space:  global
        .offset:         16
        .size:           8
        .value_kind:     global_buffer
      - .actual_access:  read_only
        .address_space:  global
        .offset:         24
        .size:           8
        .value_kind:     global_buffer
      - .actual_access:  read_only
        .address_space:  global
        .offset:         32
        .size:           8
        .value_kind:     global_buffer
      - .offset:         40
        .size:           8
        .value_kind:     by_value
      - .actual_access:  read_only
        .address_space:  global
        .offset:         48
        .size:           8
        .value_kind:     global_buffer
      - .actual_access:  read_only
        .address_space:  global
        .offset:         56
        .size:           8
        .value_kind:     global_buffer
      - .offset:         64
        .size:           4
        .value_kind:     by_value
      - .actual_access:  read_only
        .address_space:  global
        .offset:         72
        .size:           8
        .value_kind:     global_buffer
      - .actual_access:  read_only
        .address_space:  global
        .offset:         80
        .size:           8
        .value_kind:     global_buffer
      - .actual_access:  read_only
        .address_space:  global
        .offset:         88
        .size:           8
        .value_kind:     global_buffer
      - .actual_access:  write_only
        .address_space:  global
        .offset:         96
        .size:           8
        .value_kind:     global_buffer
    .group_segment_fixed_size: 0
    .kernarg_segment_align: 8
    .kernarg_segment_size: 104
    .language:       OpenCL C
    .language_version:
      - 2
      - 0
    .max_flat_workgroup_size: 52
    .name:           fft_rtc_back_len338_factors_13_2_13_wgs_52_tpt_26_halfLds_half_op_CI_CI_unitstride_sbrr_C2R_dirReg
    .private_segment_fixed_size: 0
    .sgpr_count:     41
    .sgpr_spill_count: 0
    .symbol:         fft_rtc_back_len338_factors_13_2_13_wgs_52_tpt_26_halfLds_half_op_CI_CI_unitstride_sbrr_C2R_dirReg.kd
    .uniform_work_group_size: 1
    .uses_dynamic_stack: false
    .vgpr_count:     143
    .vgpr_spill_count: 0
    .wavefront_size: 32
    .workgroup_processor_mode: 1
amdhsa.target:   amdgcn-amd-amdhsa--gfx1201
amdhsa.version:
  - 1
  - 2
...

	.end_amdgpu_metadata
